;; amdgpu-corpus repo=ROCm/rocFFT kind=compiled arch=gfx950 opt=O3
	.text
	.amdgcn_target "amdgcn-amd-amdhsa--gfx950"
	.amdhsa_code_object_version 6
	.protected	bluestein_single_back_len374_dim1_half_op_CI_CI ; -- Begin function bluestein_single_back_len374_dim1_half_op_CI_CI
	.globl	bluestein_single_back_len374_dim1_half_op_CI_CI
	.p2align	8
	.type	bluestein_single_back_len374_dim1_half_op_CI_CI,@function
bluestein_single_back_len374_dim1_half_op_CI_CI: ; @bluestein_single_back_len374_dim1_half_op_CI_CI
; %bb.0:
	s_load_dwordx4 s[8:11], s[0:1], 0x28
	v_mul_u32_u24_e32 v1, 0x788, v0
	v_lshrrev_b32_e32 v2, 16, v1
	v_mad_u64_u32 v[10:11], s[2:3], s2, 7, v[2:3]
	v_mov_b32_e32 v9, 0
	v_mov_b32_e32 v11, v9
	s_waitcnt lgkmcnt(0)
	v_cmp_gt_u64_e32 vcc, s[8:9], v[10:11]
	s_and_saveexec_b64 s[2:3], vcc
	s_cbranch_execz .LBB0_23
; %bb.1:
	v_mul_lo_u16_e32 v1, 34, v2
	s_mov_b32 s2, 0x24924925
	v_sub_u16_e32 v8, v0, v1
	v_mul_hi_u32 v0, v10, s2
	v_sub_u32_e32 v1, v10, v0
	v_lshrrev_b32_e32 v1, 1, v1
	v_add_u32_e32 v0, v1, v0
	s_load_dwordx2 s[12:13], s[0:1], 0x0
	s_load_dwordx2 s[14:15], s[0:1], 0x38
	v_lshrrev_b32_e32 v0, 2, v0
	v_mul_lo_u32 v0, v0, 7
	v_sub_u32_e32 v0, v10, v0
	v_mul_u32_u24_e32 v28, 0x176, v0
	v_cmp_gt_u16_e32 vcc, 22, v8
	v_lshlrev_b32_e32 v11, 2, v8
	v_lshlrev_b32_e32 v30, 2, v28
	s_and_saveexec_b64 s[2:3], vcc
	s_cbranch_execz .LBB0_3
; %bb.2:
	s_load_dwordx2 s[4:5], s[0:1], 0x18
	v_mov_b32_e32 v0, s10
	v_mov_b32_e32 v1, s11
	s_waitcnt lgkmcnt(0)
	global_load_dword v14, v11, s[12:13]
	v_lshl_add_u32 v19, v8, 2, v30
	s_load_dwordx4 s[4:7], s[4:5], 0x0
	v_add_u32_e32 v20, v30, v11
	s_waitcnt lgkmcnt(0)
	v_mad_u64_u32 v[2:3], s[8:9], s6, v10, 0
	v_mad_u64_u32 v[4:5], s[8:9], s4, v8, 0
	v_mov_b32_e32 v6, v3
	v_mov_b32_e32 v12, v5
	v_mad_u64_u32 v[6:7], s[6:7], s7, v10, v[6:7]
	v_mov_b32_e32 v3, v6
	v_mad_u64_u32 v[6:7], s[6:7], s5, v8, v[12:13]
	v_mov_b32_e32 v5, v6
	v_lshl_add_u64 v[0:1], v[2:3], 2, v[0:1]
	v_lshl_add_u64 v[2:3], v[4:5], 2, v[0:1]
	global_load_dword v12, v[2:3], off
	v_mov_b32_e32 v13, 0x58
	v_mad_u64_u32 v[2:3], s[6:7], s4, v13, v[2:3]
	s_mul_i32 s6, s5, 0x58
	s_nop 0
	v_add_u32_e32 v3, s6, v3
	global_load_dword v15, v[2:3], off
	global_load_dword v16, v11, s[12:13] offset:88
	v_mad_u64_u32 v[2:3], s[8:9], s4, v13, v[2:3]
	v_add_u32_e32 v3, s6, v3
	global_load_dword v17, v[2:3], off
	global_load_dword v18, v11, s[12:13] offset:176
	v_mad_u64_u32 v[2:3], s[8:9], s4, v13, v[2:3]
	v_add_u32_e32 v3, s6, v3
	global_load_dword v21, v11, s[12:13] offset:264
	global_load_dword v22, v11, s[12:13] offset:352
	;; [unrolled: 1-line block ×5, first 2 shown]
	global_load_dword v26, v[2:3], off
	v_or_b32_e32 v7, 0x160, v8
	v_mad_u64_u32 v[4:5], s[8:9], s4, v7, 0
	v_mov_b32_e32 v6, v5
	v_mad_u64_u32 v[6:7], s[8:9], s5, v7, v[6:7]
	v_mad_u64_u32 v[2:3], s[8:9], s4, v13, v[2:3]
	v_mov_b32_e32 v5, v6
	v_add_u32_e32 v3, s6, v3
	v_lshl_add_u64 v[0:1], v[4:5], 2, v[0:1]
	global_load_dword v4, v[2:3], off
	global_load_dword v5, v[0:1], off
	v_mad_u64_u32 v[0:1], s[8:9], s4, v13, v[2:3]
	v_add_u32_e32 v1, s6, v1
	global_load_dword v2, v[0:1], off
	v_mad_u64_u32 v[0:1], s[8:9], s4, v13, v[0:1]
	v_add_u32_e32 v1, s6, v1
	;; [unrolled: 3-line block ×4, first 2 shown]
	global_load_dword v7, v[0:1], off
	global_load_dword v31, v11, s[12:13] offset:704
	v_mad_u64_u32 v[0:1], s[8:9], s4, v13, v[0:1]
	v_add_u32_e32 v1, s6, v1
	global_load_dword v27, v[0:1], off
	v_mad_u64_u32 v[0:1], s[8:9], s4, v13, v[0:1]
	v_add_u32_e32 v1, s6, v1
	global_load_dword v29, v[0:1], off
	v_mad_u64_u32 v[0:1], s[8:9], s4, v13, v[0:1]
	v_add_u32_e32 v1, s6, v1
	global_load_dword v32, v[0:1], off
	v_mad_u64_u32 v[0:1], s[8:9], s4, v13, v[0:1]
	v_add_u32_e32 v1, s6, v1
	global_load_dword v36, v11, s[12:13] offset:880
	s_waitcnt vmcnt(21)
	v_lshrrev_b32_e32 v33, 16, v12
	v_mul_f16_sdwa v34, v14, v12 dst_sel:DWORD dst_unused:UNUSED_PAD src0_sel:WORD_1 src1_sel:DWORD
	v_mul_f16_sdwa v35, v14, v33 dst_sel:DWORD dst_unused:UNUSED_PAD src0_sel:WORD_1 src1_sel:DWORD
	v_fma_f16 v33, v14, v33, -v34
	global_load_dword v34, v11, s[12:13] offset:792
	v_fma_f16 v12, v14, v12, v35
	s_waitcnt vmcnt(21)
	v_lshrrev_b32_e32 v14, 16, v15
	s_waitcnt vmcnt(20)
	v_mul_f16_sdwa v35, v16, v15 dst_sel:DWORD dst_unused:UNUSED_PAD src0_sel:WORD_1 src1_sel:DWORD
	v_pack_b32_f16 v12, v12, v33
	v_mul_f16_sdwa v33, v16, v14 dst_sel:DWORD dst_unused:UNUSED_PAD src0_sel:WORD_1 src1_sel:DWORD
	v_fma_f16 v14, v16, v14, -v35
	ds_write_b32 v19, v12
	v_fma_f16 v12, v16, v15, v33
	global_load_dword v16, v11, s[12:13] offset:968
	s_waitcnt vmcnt(20)
	v_lshrrev_b32_e32 v15, 16, v17
	global_load_dword v19, v[0:1], off
	global_load_dword v33, v11, s[12:13] offset:1056
	v_pack_b32_f16 v12, v12, v14
	s_waitcnt vmcnt(21)
	v_mul_f16_sdwa v14, v18, v15 dst_sel:DWORD dst_unused:UNUSED_PAD src0_sel:WORD_1 src1_sel:DWORD
	v_fma_f16 v14, v18, v17, v14
	v_mul_f16_sdwa v17, v18, v17 dst_sel:DWORD dst_unused:UNUSED_PAD src0_sel:WORD_1 src1_sel:DWORD
	v_mad_u64_u32 v[0:1], s[8:9], s4, v13, v[0:1]
	v_fma_f16 v15, v18, v15, -v17
	v_add_u32_e32 v1, s6, v1
	v_pack_b32_f16 v14, v14, v15
	global_load_dword v15, v[0:1], off
	global_load_dword v17, v11, s[12:13] offset:1144
	v_mad_u64_u32 v[0:1], s[8:9], s4, v13, v[0:1]
	ds_write2_b32 v20, v12, v14 offset0:22 offset1:44
	v_add_u32_e32 v1, s6, v1
	global_load_dword v12, v[0:1], off
	global_load_dword v14, v11, s[12:13] offset:1232
	v_mad_u64_u32 v[0:1], s[4:5], s4, v13, v[0:1]
	v_add_u32_e32 v1, s6, v1
	global_load_dword v13, v[0:1], off
	global_load_dword v37, v11, s[12:13] offset:1320
	s_waitcnt vmcnt(21)
	v_lshrrev_b32_e32 v18, 16, v26
	v_mul_f16_sdwa v35, v21, v18 dst_sel:DWORD dst_unused:UNUSED_PAD src0_sel:WORD_1 src1_sel:DWORD
	v_mul_f16_sdwa v0, v21, v26 dst_sel:DWORD dst_unused:UNUSED_PAD src0_sel:WORD_1 src1_sel:DWORD
	v_fma_f16 v35, v21, v26, v35
	v_fma_f16 v0, v21, v18, -v0
	global_load_dword v21, v11, s[12:13] offset:1408
	s_waitcnt vmcnt(21)
	v_lshrrev_b32_e32 v1, 16, v4
	v_mul_f16_sdwa v18, v22, v1 dst_sel:DWORD dst_unused:UNUSED_PAD src0_sel:WORD_1 src1_sel:DWORD
	v_fma_f16 v18, v22, v4, v18
	v_mul_f16_sdwa v4, v22, v4 dst_sel:DWORD dst_unused:UNUSED_PAD src0_sel:WORD_1 src1_sel:DWORD
	v_fma_f16 v1, v22, v1, -v4
	v_pack_b32_f16 v0, v35, v0
	v_pack_b32_f16 v1, v18, v1
	ds_write2_b32 v20, v0, v1 offset0:66 offset1:88
	s_waitcnt vmcnt(19)
	v_lshrrev_b32_e32 v0, 16, v2
	v_mul_f16_sdwa v1, v23, v0 dst_sel:DWORD dst_unused:UNUSED_PAD src0_sel:WORD_1 src1_sel:DWORD
	v_fma_f16 v1, v23, v2, v1
	v_mul_f16_sdwa v2, v23, v2 dst_sel:DWORD dst_unused:UNUSED_PAD src0_sel:WORD_1 src1_sel:DWORD
	v_fma_f16 v0, v23, v0, -v2
	v_pack_b32_f16 v0, v1, v0
	s_waitcnt vmcnt(18)
	v_lshrrev_b32_e32 v1, 16, v3
	v_mul_f16_sdwa v2, v24, v1 dst_sel:DWORD dst_unused:UNUSED_PAD src0_sel:WORD_1 src1_sel:DWORD
	v_fma_f16 v2, v24, v3, v2
	v_mul_f16_sdwa v3, v24, v3 dst_sel:DWORD dst_unused:UNUSED_PAD src0_sel:WORD_1 src1_sel:DWORD
	v_fma_f16 v1, v24, v1, -v3
	v_pack_b32_f16 v1, v2, v1
	ds_write2_b32 v20, v0, v1 offset0:110 offset1:132
	s_waitcnt vmcnt(17)
	v_lshrrev_b32_e32 v0, 16, v6
	v_mul_f16_sdwa v1, v25, v0 dst_sel:DWORD dst_unused:UNUSED_PAD src0_sel:WORD_1 src1_sel:DWORD
	v_mul_f16_sdwa v2, v25, v6 dst_sel:DWORD dst_unused:UNUSED_PAD src0_sel:WORD_1 src1_sel:DWORD
	v_fma_f16 v1, v25, v6, v1
	v_fma_f16 v0, v25, v0, -v2
	v_pack_b32_f16 v0, v1, v0
	s_waitcnt vmcnt(16)
	v_lshrrev_b32_e32 v1, 16, v7
	s_waitcnt vmcnt(15)
	v_mul_f16_sdwa v2, v31, v1 dst_sel:DWORD dst_unused:UNUSED_PAD src0_sel:WORD_1 src1_sel:DWORD
	v_mul_f16_sdwa v3, v31, v7 dst_sel:DWORD dst_unused:UNUSED_PAD src0_sel:WORD_1 src1_sel:DWORD
	v_fma_f16 v2, v31, v7, v2
	v_fma_f16 v1, v31, v1, -v3
	v_pack_b32_f16 v1, v2, v1
	ds_write2_b32 v20, v0, v1 offset0:154 offset1:176
	s_waitcnt vmcnt(14)
	v_lshrrev_b32_e32 v0, 16, v27
	s_waitcnt vmcnt(11)
	v_mul_f16_sdwa v3, v36, v29 dst_sel:DWORD dst_unused:UNUSED_PAD src0_sel:WORD_1 src1_sel:DWORD
	s_waitcnt vmcnt(10)
	v_mul_f16_sdwa v1, v34, v0 dst_sel:DWORD dst_unused:UNUSED_PAD src0_sel:WORD_1 src1_sel:DWORD
	v_mul_f16_sdwa v2, v34, v27 dst_sel:DWORD dst_unused:UNUSED_PAD src0_sel:WORD_1 src1_sel:DWORD
	v_fma_f16 v1, v34, v27, v1
	v_fma_f16 v0, v34, v0, -v2
	v_pack_b32_f16 v0, v1, v0
	v_lshrrev_b32_e32 v1, 16, v29
	v_mul_f16_sdwa v2, v36, v1 dst_sel:DWORD dst_unused:UNUSED_PAD src0_sel:WORD_1 src1_sel:DWORD
	v_fma_f16 v2, v36, v29, v2
	v_fma_f16 v1, v36, v1, -v3
	v_pack_b32_f16 v1, v2, v1
	ds_write2_b32 v20, v0, v1 offset0:198 offset1:220
	v_lshrrev_b32_e32 v0, 16, v32
	s_waitcnt vmcnt(9)
	v_mul_f16_sdwa v1, v16, v0 dst_sel:DWORD dst_unused:UNUSED_PAD src0_sel:WORD_1 src1_sel:DWORD
	v_mul_f16_sdwa v2, v16, v32 dst_sel:DWORD dst_unused:UNUSED_PAD src0_sel:WORD_1 src1_sel:DWORD
	v_fma_f16 v1, v16, v32, v1
	v_fma_f16 v0, v16, v0, -v2
	v_pack_b32_f16 v0, v1, v0
	s_waitcnt vmcnt(8)
	v_lshrrev_b32_e32 v1, 16, v19
	s_waitcnt vmcnt(7)
	v_mul_f16_sdwa v2, v33, v1 dst_sel:DWORD dst_unused:UNUSED_PAD src0_sel:WORD_1 src1_sel:DWORD
	v_mul_f16_sdwa v3, v33, v19 dst_sel:DWORD dst_unused:UNUSED_PAD src0_sel:WORD_1 src1_sel:DWORD
	v_fma_f16 v2, v33, v19, v2
	v_fma_f16 v1, v33, v1, -v3
	v_pack_b32_f16 v1, v2, v1
	v_add_u32_e32 v2, 0x200, v20
	ds_write2_b32 v2, v0, v1 offset0:114 offset1:136
	s_waitcnt vmcnt(6)
	v_lshrrev_b32_e32 v0, 16, v15
	s_waitcnt vmcnt(5)
	v_mul_f16_sdwa v1, v17, v0 dst_sel:DWORD dst_unused:UNUSED_PAD src0_sel:WORD_1 src1_sel:DWORD
	v_mul_f16_sdwa v2, v17, v15 dst_sel:DWORD dst_unused:UNUSED_PAD src0_sel:WORD_1 src1_sel:DWORD
	v_fma_f16 v1, v17, v15, v1
	v_fma_f16 v0, v17, v0, -v2
	v_pack_b32_f16 v0, v1, v0
	s_waitcnt vmcnt(4)
	v_lshrrev_b32_e32 v1, 16, v12
	s_waitcnt vmcnt(3)
	v_mul_f16_sdwa v2, v14, v1 dst_sel:DWORD dst_unused:UNUSED_PAD src0_sel:WORD_1 src1_sel:DWORD
	v_mul_f16_sdwa v3, v14, v12 dst_sel:DWORD dst_unused:UNUSED_PAD src0_sel:WORD_1 src1_sel:DWORD
	v_fma_f16 v2, v14, v12, v2
	v_fma_f16 v1, v14, v1, -v3
	v_pack_b32_f16 v1, v2, v1
	v_add_u32_e32 v2, 0x400, v20
	ds_write2_b32 v2, v0, v1 offset0:30 offset1:52
	s_waitcnt vmcnt(2)
	v_lshrrev_b32_e32 v0, 16, v13
	s_waitcnt vmcnt(1)
	v_mul_f16_sdwa v1, v37, v0 dst_sel:DWORD dst_unused:UNUSED_PAD src0_sel:WORD_1 src1_sel:DWORD
	v_mul_f16_sdwa v3, v37, v13 dst_sel:DWORD dst_unused:UNUSED_PAD src0_sel:WORD_1 src1_sel:DWORD
	v_fma_f16 v1, v37, v13, v1
	v_fma_f16 v0, v37, v0, -v3
	v_pack_b32_f16 v0, v1, v0
	v_lshrrev_b32_e32 v1, 16, v5
	s_waitcnt vmcnt(0)
	v_mul_f16_sdwa v3, v21, v1 dst_sel:DWORD dst_unused:UNUSED_PAD src0_sel:WORD_1 src1_sel:DWORD
	v_mul_f16_sdwa v4, v21, v5 dst_sel:DWORD dst_unused:UNUSED_PAD src0_sel:WORD_1 src1_sel:DWORD
	v_fma_f16 v3, v21, v5, v3
	v_fma_f16 v1, v21, v1, -v4
	v_pack_b32_f16 v1, v3, v1
	ds_write2_b32 v2, v0, v1 offset0:74 offset1:96
.LBB0_3:
	s_or_b64 exec, exec, s[2:3]
	v_mov_b32_e32 v0, 0
	s_waitcnt lgkmcnt(0)
	s_barrier
	s_waitcnt lgkmcnt(0)
                                        ; implicit-def: $vgpr20
                                        ; implicit-def: $vgpr45
                                        ; implicit-def: $vgpr46
                                        ; implicit-def: $vgpr24
                                        ; implicit-def: $vgpr48
                                        ; implicit-def: $vgpr49
                                        ; implicit-def: $vgpr51
                                        ; implicit-def: $vgpr50
                                        ; implicit-def: $vgpr23
                                        ; implicit-def: $vgpr47
                                        ; implicit-def: $vgpr44
                                        ; implicit-def: $vgpr19
                                        ; implicit-def: $vgpr39
                                        ; implicit-def: $vgpr42
                                        ; implicit-def: $vgpr7
                                        ; implicit-def: $vgpr29
                                        ; implicit-def: $vgpr38
                                        ; implicit-def: $vgpr5
                                        ; implicit-def: $vgpr41
                                        ; implicit-def: $vgpr16
                                        ; implicit-def: $vgpr3
                                        ; implicit-def: $vgpr37
                                        ; implicit-def: $vgpr40
                                        ; implicit-def: $vgpr43
	s_and_saveexec_b64 s[2:3], vcc
	s_cbranch_execz .LBB0_5
; %bb.4:
	v_lshl_add_u32 v12, v28, 2, v11
	v_add_u32_e32 v13, 0x400, v12
	ds_read2_b32 v[0:1], v12 offset1:22
	ds_read2_b32 v[2:3], v12 offset0:44 offset1:66
	ds_read2_b32 v[4:5], v12 offset0:88 offset1:110
	;; [unrolled: 1-line block ×7, first 2 shown]
	ds_read_b32 v51, v12 offset:1408
	s_waitcnt lgkmcnt(8)
	v_lshrrev_b32_e32 v43, 16, v1
	s_waitcnt lgkmcnt(7)
	v_lshrrev_b32_e32 v40, 16, v2
	v_lshrrev_b32_e32 v37, 16, v3
	s_waitcnt lgkmcnt(6)
	v_lshrrev_b32_e32 v16, 16, v4
	;; [unrolled: 3-line block ×8, first 2 shown]
.LBB0_5:
	s_or_b64 exec, exec, s[2:3]
	v_sub_f16_e32 v71, v43, v50
	v_add_f16_e32 v65, v51, v1
	s_movk_i32 s9, 0x3b76
	v_mul_f16_e32 v52, 0xb5c8, v71
	v_sub_f16_e32 v82, v40, v49
	v_fma_f16 v12, v65, s9, v52
	s_movk_i32 s8, 0x39e9
	v_mul_f16_e32 v53, 0xb964, v71
	v_add_f16_e32 v70, v25, v2
	v_mul_f16_e32 v54, 0xb964, v82
	v_add_f16_e32 v12, v12, v0
	v_fma_f16 v13, v65, s8, v53
	s_movk_i32 s7, 0x2de8
	v_fma_f16 v14, v70, s8, v54
	v_mul_f16_e32 v55, 0xbbf7, v82
	v_sub_f16_e32 v96, v37, v48
	v_add_f16_e32 v13, v13, v0
	s_movk_i32 s6, 0x3722
	v_add_f16_e32 v12, v14, v12
	v_fma_f16 v14, v70, s7, v55
	v_add_f16_e32 v72, v24, v3
	v_mul_f16_e32 v56, 0xbb29, v96
	s_mov_b32 s11, 0xb8d2
	v_add_f16_e32 v13, v14, v13
	v_fma_f16 v14, v72, s6, v56
	v_mul_f16_e32 v57, 0xba62, v96
	v_sub_f16_e32 v102, v16, v46
	v_add_f16_e32 v12, v14, v12
	v_fma_f16 v14, v72, s11, v57
	v_add_f16_e32 v85, v21, v4
	v_mul_f16_e32 v58, 0xbbf7, v102
	s_mov_b32 s17, 0xbbdd
	v_add_f16_e32 v13, v14, v13
	v_fma_f16 v14, v85, s7, v58
	v_mul_f16_e32 v59, 0xb1e1, v102
	v_sub_f16_e32 v114, v41, v45
	s_mov_b32 s10, 0xb461
	v_add_f16_e32 v12, v14, v12
	v_fma_f16 v14, v85, s17, v59
	v_add_f16_e32 v94, v20, v5
	v_mul_f16_e32 v60, 0xbbb2, v114
	s_mov_b32 s16, 0xbacd
	v_add_f16_e32 v13, v14, v13
	v_fma_f16 v14, v94, s10, v60
	v_mul_f16_e32 v61, 0x3836, v114
	v_sub_f16_e32 v127, v38, v47
	v_add_f16_e32 v12, v14, v12
	v_fma_f16 v14, v94, s16, v61
	v_add_f16_e32 v95, v23, v6
	v_mul_f16_e32 v62, 0xba62, v127
	v_add_f16_e32 v13, v14, v13
	v_fma_f16 v14, v95, s11, v62
	v_mul_f16_e32 v63, 0x3bb2, v127
	v_sub_f16_e32 v147, v29, v44
	v_add_f16_e32 v12, v14, v12
	v_fma_f16 v14, v95, s10, v63
	v_add_f16_e32 v97, v22, v7
	v_mul_f16_e32 v64, 0xb836, v147
	;; [unrolled: 8-line block ×3, first 2 shown]
	v_add_f16_e32 v14, v14, v13
	v_fma_f16 v13, v98, s17, v67
	v_mul_f16_e32 v68, 0x35c8, v160
	v_add_f16_e32 v13, v13, v12
	v_fma_f16 v12, v98, s9, v68
	v_mul_f16_e32 v73, 0xbb29, v71
	;; [unrolled: 3-line block ×33, first 2 shown]
	v_sub_f16_e32 v183, v1, v51
	v_add_f16_e32 v27, v27, v17
	v_fma_f16 v17, v98, s10, v139
	v_add_f16_e32 v192, v50, v43
	v_mul_f16_e32 v91, 0xb5c8, v183
	v_sub_f16_e32 v184, v2, v25
	v_add_f16_e32 v26, v17, v26
	v_fma_f16 v17, v192, s9, -v91
	v_add_f16_e32 v193, v49, v40
	v_mul_f16_e32 v93, 0xb964, v184
	v_add_f16_sdwa v17, v17, v0 dst_sel:DWORD dst_unused:UNUSED_PAD src0_sel:DWORD src1_sel:WORD_1
	v_fma_f16 v31, v193, s8, -v93
	v_mul_f16_e32 v99, 0xb964, v183
	v_add_f16_e32 v17, v31, v17
	v_fma_f16 v31, v192, s8, -v99
	v_mul_f16_e32 v100, 0xbbf7, v184
	v_add_f16_sdwa v31, v31, v0 dst_sel:DWORD dst_unused:UNUSED_PAD src0_sel:DWORD src1_sel:WORD_1
	v_fma_f16 v32, v193, s7, -v100
	v_mul_f16_e32 v104, 0xbb29, v183
	v_add_f16_e32 v31, v32, v31
	v_fma_f16 v32, v192, s6, -v104
	;; [unrolled: 6-line block ×3, first 2 shown]
	v_mul_f16_e32 v118, 0xb1e1, v184
	v_add_f16_sdwa v33, v33, v0 dst_sel:DWORD dst_unused:UNUSED_PAD src0_sel:DWORD src1_sel:WORD_1
	v_fma_f16 v34, v193, s17, -v118
	v_mul_f16_e32 v123, 0xbbb2, v71
	v_add_f16_e32 v33, v34, v33
	v_fma_f16 v34, v65, s10, v123
	v_mul_f16_e32 v124, 0x3836, v82
	v_add_f16_e32 v34, v34, v0
	v_fma_f16 v35, v70, s16, v124
	v_mul_f16_e32 v137, 0xbbb2, v183
	v_add_f16_e32 v34, v35, v34
	v_fma_f16 v35, v192, s10, -v137
	v_mul_f16_e32 v138, 0x3836, v184
	v_add_f16_sdwa v35, v35, v0 dst_sel:DWORD dst_unused:UNUSED_PAD src0_sel:DWORD src1_sel:WORD_1
	v_fma_f16 v36, v193, s16, -v138
	v_mul_f16_e32 v151, 0xba62, v183
	v_add_f16_e32 v35, v36, v35
	v_fma_f16 v36, v192, s11, -v151
	v_mul_f16_e32 v152, 0x3bb2, v184
	v_add_f16_sdwa v36, v36, v0 dst_sel:DWORD dst_unused:UNUSED_PAD src0_sel:DWORD src1_sel:WORD_1
	v_fma_f16 v69, v193, s10, -v152
	v_mul_f16_e32 v174, 0xb836, v183
	v_add_f16_e32 v36, v69, v36
	v_fma_f16 v69, v192, s16, -v174
	v_mul_f16_e32 v173, 0x3b29, v184
	v_sub_f16_e32 v189, v3, v24
	v_add_f16_sdwa v69, v69, v0 dst_sel:DWORD dst_unused:UNUSED_PAD src0_sel:DWORD src1_sel:WORD_1
	v_fma_f16 v77, v193, s6, -v173
	v_add_f16_e32 v197, v48, v37
	v_mul_f16_e32 v101, 0xbb29, v189
	v_add_f16_e32 v69, v77, v69
	v_fma_f16 v77, v197, s6, -v101
	v_mul_f16_e32 v108, 0xba62, v189
	v_add_f16_e32 v17, v77, v17
	v_fma_f16 v77, v197, s11, -v108
	v_mul_f16_e32 v119, 0x31e1, v189
	v_add_f16_e32 v31, v77, v31
	v_fma_f16 v77, v197, s17, -v119
	v_mul_f16_e32 v129, 0x3bb2, v189
	v_add_f16_e32 v32, v77, v32
	v_fma_f16 v77, v197, s10, -v129
	v_mul_f16_e32 v142, 0x3964, v96
	v_add_f16_e32 v33, v77, v33
	v_fma_f16 v77, v72, s8, v142
	v_mul_f16_e32 v146, 0x3964, v189
	v_add_f16_e32 v34, v77, v34
	v_fma_f16 v77, v197, s8, -v146
	v_mul_f16_e32 v158, 0xb5c8, v189
	v_add_f16_e32 v35, v77, v35
	v_fma_f16 v77, v197, s9, -v158
	v_mul_f16_e32 v178, 0xbbf7, v189
	v_sub_f16_e32 v194, v4, v21
	v_add_f16_e32 v36, v77, v36
	v_fma_f16 v77, v197, s7, -v178
	v_add_f16_e32 v190, v46, v16
	v_mul_f16_e32 v103, 0xbbf7, v194
	v_add_f16_e32 v69, v77, v69
	v_fma_f16 v77, v190, s7, -v103
	v_mul_f16_e32 v116, 0xb1e1, v194
	v_add_f16_e32 v17, v77, v17
	v_fma_f16 v77, v190, s17, -v116
	v_mul_f16_e32 v125, 0x3bb2, v194
	v_add_f16_e32 v31, v77, v31
	v_fma_f16 v77, v190, s10, -v125
	v_mul_f16_e32 v143, 0x35c8, v194
	v_add_f16_e32 v32, v77, v32
	v_fma_f16 v77, v190, s9, -v143
	v_mul_f16_e32 v148, 0xbb29, v102
	v_add_f16_e32 v33, v77, v33
	v_fma_f16 v77, v85, s6, v148
	v_mul_f16_e32 v154, 0xbb29, v194
	v_add_f16_e32 v34, v77, v34
	v_fma_f16 v77, v190, s6, -v154
	v_mul_f16_e32 v166, 0xb836, v194
	v_add_f16_e32 v35, v77, v35
	v_fma_f16 v77, v190, s16, -v166
	v_mul_f16_e32 v181, 0x3a62, v194
	v_sub_f16_e32 v196, v5, v20
	v_add_f16_e32 v36, v77, v36
	;; [unrolled: 26-line block ×5, first 2 shown]
	v_fma_f16 v32, v182, s8, -v191
	v_add_f16_e32 v179, v39, v42
	v_mul_f16_e32 v141, 0xb1e1, v200
	v_add_f16_e32 v69, v32, v69
	v_fma_f16 v32, v179, s17, -v141
	v_mul_f16_e32 v150, 0x35c8, v200
	v_add_f16_e32 v32, v32, v17
	v_fma_f16 v17, v179, s9, -v150
	;; [unrolled: 3-line block ×5, first 2 shown]
	v_mul_f16_e32 v180, 0x3b29, v200
	s_load_dwordx2 s[2:3], s[0:1], 0x20
	s_load_dwordx2 s[4:5], s[0:1], 0x8
	v_add_f16_e32 v36, v17, v161
	v_fma_f16 v17, v179, s6, -v180
	v_mul_f16_e32 v195, 0xbbb2, v200
	v_add_f16_e32 v77, v17, v176
	v_fma_f16 v17, v179, s10, -v195
	v_mul_f16_e32 v176, 0xba62, v160
	v_add_f16_e32 v69, v17, v69
	v_fma_f16 v17, v98, s11, v176
	s_mov_b32 s30, 0xb5c8
	s_mov_b32 s29, 0xb964
	;; [unrolled: 1-line block ×8, first 2 shown]
	s_movk_i32 s31, 0x3836
	s_movk_i32 s28, 0x3bb2
	;; [unrolled: 1-line block ×8, first 2 shown]
	v_add_f16_e32 v17, v17, v159
	v_mul_lo_u16_e32 v31, 17, v8
	s_waitcnt lgkmcnt(0)
	s_barrier
	s_and_saveexec_b64 s[0:1], vcc
	s_cbranch_execz .LBB0_7
; %bb.6:
	v_mul_f16_e32 v161, 0x3b76, v192
	v_mul_f16_e32 v202, 0x39e9, v192
	;; [unrolled: 1-line block ×15, first 2 shown]
	v_fma_f16 v241, v183, s34, v192
	v_mul_f16_e32 v193, 0x3b76, v193
	v_mul_f16_e32 v227, 0x3722, v197
	;; [unrolled: 1-line block ×8, first 2 shown]
	v_add_f16_sdwa v241, v241, v0 dst_sel:DWORD dst_unused:UNUSED_PAD src0_sel:DWORD src1_sel:WORD_1
	v_fma_f16 v242, v184, s30, v193
	v_mul_f16_e32 v197, 0xbacd, v197
	v_add_f16_e32 v241, v242, v241
	v_fma_f16 v242, v189, s31, v197
	v_add_f16_e32 v241, v242, v241
	v_mul_f16_e32 v242, 0x39e9, v190
	v_fma_f16 v243, v194, s29, v242
	v_add_f16_e32 v241, v243, v241
	v_mul_f16_e32 v243, 0xb8d2, v187
	;; [unrolled: 3-line block ×5, first 2 shown]
	v_fma_f16 v247, v200, s26, v246
	v_mul_f16_e32 v71, 0xb1e1, v71
	v_add_f16_e32 v241, v247, v241
	v_fma_f16 v247, v65, s17, v71
	v_mul_f16_e32 v82, 0x35c8, v82
	v_add_f16_e32 v247, v247, v0
	v_fma_f16 v248, v70, s9, v82
	v_mul_f16_e32 v96, 0xb836, v96
	v_fma_f16 v183, v183, s24, v192
	v_add_f16_e32 v247, v248, v247
	v_fma_f16 v248, v72, s16, v96
	v_mul_f16_e32 v102, 0x3964, v102
	v_fma_f16 v184, v184, s25, v193
	v_add_f16_sdwa v183, v183, v0 dst_sel:DWORD dst_unused:UNUSED_PAD src0_sel:DWORD src1_sel:WORD_1
	v_add_f16_e32 v247, v248, v247
	v_fma_f16 v248, v85, s8, v102
	v_mul_f16_e32 v114, 0xba62, v114
	v_add_f16_e32 v183, v184, v183
	v_fma_f16 v189, v189, s23, v197
	v_mul_f16_e32 v155, 0x3b76, v65
	v_mul_f16_e32 v201, 0x39e9, v65
	v_mul_f16_e32 v203, 0x3722, v65
	v_mul_f16_e32 v205, 0x2de8, v65
	v_mul_f16_e32 v207, 0xb461, v65
	v_mul_f16_e32 v209, 0xb8d2, v65
	v_mul_f16_e32 v211, 0xbacd, v65
	v_add_f16_e32 v247, v248, v247
	v_fma_f16 v248, v94, s11, v114
	v_mul_f16_e32 v127, 0x3b29, v127
	v_add_f16_e32 v183, v189, v183
	v_fma_f16 v194, v194, s22, v242
	v_fma_f16 v65, v65, s17, -v71
	v_mul_f16_e32 v159, 0x39e9, v70
	v_mul_f16_e32 v214, 0x2de8, v70
	;; [unrolled: 1-line block ×7, first 2 shown]
	v_add_f16_e32 v247, v248, v247
	v_fma_f16 v248, v95, s6, v127
	v_mul_f16_e32 v147, 0xbbb2, v147
	v_add_f16_e32 v183, v194, v183
	v_fma_f16 v196, v196, s21, v243
	v_fma_f16 v70, v70, s9, -v82
	v_add_f16_e32 v65, v65, v0
	v_mul_f16_e32 v226, 0x3722, v72
	v_mul_f16_e32 v228, 0xb8d2, v72
	;; [unrolled: 1-line block ×7, first 2 shown]
	v_add_f16_e32 v247, v248, v247
	v_fma_f16 v248, v97, s10, v147
	v_mul_f16_e32 v160, 0x3bf7, v160
	v_add_f16_e32 v183, v196, v183
	v_fma_f16 v198, v198, s20, v244
	v_add_f16_e32 v65, v70, v65
	v_fma_f16 v72, v72, s16, -v96
	v_add_f16_e32 v174, v174, v212
	v_mul_f16_e32 v240, 0x2de8, v85
	v_add_f16_e32 v247, v248, v247
	v_fma_f16 v248, v98, s7, v160
	v_mul_f16_e32 v192, 0xbbdd, v85
	v_mul_f16_e32 v184, 0xb461, v85
	;; [unrolled: 1-line block ×5, first 2 shown]
	v_add_f16_e32 v183, v198, v183
	v_mul_f16_e32 v198, 0xb8d2, v85
	v_fma_f16 v199, v199, s18, v245
	v_add_f16_e32 v65, v72, v65
	v_fma_f16 v85, v85, s8, -v102
	v_add_f16_e32 v173, v173, v225
	v_add_f16_sdwa v174, v174, v0 dst_sel:DWORD dst_unused:UNUSED_PAD src0_sel:DWORD src1_sel:WORD_1
	v_add_f16_e32 v247, v248, v247
	v_mul_f16_e32 v248, 0x2de8, v190
	v_mul_f16_e32 v193, 0xbbdd, v190
	;; [unrolled: 1-line block ×7, first 2 shown]
	v_add_f16_e32 v183, v199, v183
	v_fma_f16 v200, v200, s19, v246
	v_add_f16_e32 v65, v85, v65
	v_fma_f16 v114, v94, s11, -v114
	v_add_f16_e32 v173, v173, v174
	v_add_f16_e32 v178, v178, v239
	v_mul_f16_e32 v199, 0xb461, v187
	v_add_f16_e32 v183, v200, v183
	v_mul_f16_e32 v200, 0xbacd, v187
	v_mul_f16_e32 v82, 0x39e9, v187
	;; [unrolled: 1-line block ×4, first 2 shown]
	v_add_f16_e32 v65, v114, v65
	v_mul_f16_e32 v114, 0x2de8, v187
	v_mul_f16_e32 v187, 0x3b76, v187
	v_fma_f16 v127, v95, s6, -v127
	v_add_f16_e32 v173, v178, v173
	v_add_f16_e32 v181, v181, v190
	;; [unrolled: 1-line block ×3, first 2 shown]
	v_fma_f16 v147, v97, s10, -v147
	v_add_f16_e32 v173, v181, v173
	v_add_f16_e32 v186, v186, v187
	;; [unrolled: 1-line block ×3, first 2 shown]
	v_mul_f16_e32 v147, 0xb8d2, v185
	v_mul_f16_e32 v212, 0xb461, v185
	;; [unrolled: 1-line block ×5, first 2 shown]
	v_add_f16_e32 v173, v186, v173
	v_mul_f16_e32 v186, 0x39e9, v185
	v_mul_f16_e32 v185, 0xbbdd, v185
	v_sub_f16_e32 v136, v211, v136
	v_add_f16_e32 v185, v188, v185
	v_sub_f16_e32 v135, v224, v135
	v_add_f16_e32 v136, v136, v0
	v_add_f16_e32 v173, v185, v173
	v_mul_f16_e32 v185, 0x39e9, v182
	v_add_f16_e32 v135, v135, v136
	v_sub_f16_e32 v132, v238, v132
	v_mul_f16_e32 v245, 0xb461, v94
	v_mul_f16_e32 v246, 0xbacd, v94
	;; [unrolled: 1-line block ×7, first 2 shown]
	v_fma_f16 v160, v98, s7, -v160
	v_add_f16_e32 v185, v191, v185
	v_add_f16_e32 v132, v132, v135
	v_sub_f16_e32 v133, v198, v133
	v_sub_f16_e32 v106, v209, v106
	v_mul_f16_e32 v127, 0xb8d2, v95
	v_add_f16_e32 v65, v160, v65
	v_mul_f16_e32 v160, 0xb461, v95
	v_mul_f16_e32 v225, 0x3b76, v95
	v_mul_f16_e32 v239, 0xbacd, v95
	v_mul_f16_e32 v190, 0x2de8, v95
	v_mul_f16_e32 v187, 0x39e9, v95
	v_mul_f16_e32 v95, 0xbbdd, v95
	v_add_f16_e32 v173, v185, v173
	v_mul_f16_e32 v185, 0xb461, v179
	v_add_f16_e32 v132, v133, v132
	v_sub_f16_e32 v94, v94, v130
	v_add_f16_e32 v106, v106, v0
	v_sub_f16_e32 v107, v222, v107
	v_mul_f16_e32 v188, 0xbacd, v97
	v_add_f16_e32 v185, v195, v185
	v_mul_f16_e32 v195, 0x3722, v97
	v_mul_f16_e32 v211, 0x2de8, v97
	v_mul_f16_e32 v136, 0xb8d2, v97
	v_mul_f16_e32 v135, 0x3b76, v97
	v_mul_f16_e32 v133, 0xbbdd, v97
	v_mul_f16_e32 v97, 0x39e9, v97
	v_add_f16_e32 v94, v94, v132
	v_sub_f16_e32 v95, v95, v131
	v_add_f16_e32 v106, v107, v106
	v_sub_f16_e32 v107, v236, v109
	;; [unrolled: 2-line block ×4, first 2 shown]
	v_add_f16_e32 v94, v97, v94
	v_mul_f16_e32 v97, 0xb461, v98
	v_add_f16_e32 v106, v107, v106
	v_sub_f16_e32 v85, v85, v112
	v_sub_f16_e32 v97, v97, v139
	v_add_f16_e32 v85, v85, v106
	v_sub_f16_e32 v106, v187, v113
	v_mul_f16_e32 v130, 0xbbdd, v98
	v_mul_f16_e32 v131, 0x3b76, v98
	;; [unrolled: 1-line block ×3, first 2 shown]
	v_add_f16_e32 v94, v97, v94
	v_mul_f16_e32 v97, 0x39e9, v98
	v_add_f16_e32 v152, v152, v223
	v_mul_f16_e32 v223, 0xb8d2, v98
	v_mul_f16_e32 v98, 0x3722, v98
	v_add_f16_e32 v85, v106, v85
	v_sub_f16_e32 v106, v133, v115
	v_add_f16_e32 v85, v106, v85
	v_sub_f16_e32 v98, v98, v120
	v_add_f16_e32 v85, v98, v85
	v_add_f16_e32 v98, v137, v208
	v_add_f16_sdwa v98, v98, v0 dst_sel:DWORD dst_unused:UNUSED_PAD src0_sel:DWORD src1_sel:WORD_1
	v_add_f16_e32 v106, v138, v221
	v_add_f16_e32 v98, v106, v98
	;; [unrolled: 1-line block ×8, first 2 shown]
	v_mul_f16_e32 v198, 0x3b76, v182
	v_add_f16_sdwa v151, v151, v0 dst_sel:DWORD dst_unused:UNUSED_PAD src0_sel:DWORD src1_sel:WORD_1
	v_add_f16_e32 v98, v102, v98
	v_add_f16_e32 v102, v167, v181
	;; [unrolled: 1-line block ×3, first 2 shown]
	v_mul_f16_e32 v152, 0xb8d2, v179
	v_add_f16_e32 v98, v102, v98
	v_add_f16_e32 v102, v171, v198
	;; [unrolled: 1-line block ×5, first 2 shown]
	v_sub_f16_e32 v102, v207, v123
	v_sub_f16_e32 v83, v205, v83
	v_sub_f16_e32 v73, v203, v73
	v_sub_f16_e32 v53, v201, v53
	v_add_f16_e32 v102, v102, v0
	v_sub_f16_e32 v106, v220, v124
	v_add_f16_e32 v83, v83, v0
	v_sub_f16_e32 v84, v218, v84
	;; [unrolled: 2-line block ×28, first 2 shown]
	v_add_f16_e32 v72, v102, v72
	v_add_f16_e32 v102, v117, v206
	;; [unrolled: 1-line block ×8, first 2 shown]
	v_sub_f16_e32 v52, v155, v52
	v_add_f16_sdwa v102, v102, v0 dst_sel:DWORD dst_unused:UNUSED_PAD src0_sel:DWORD src1_sel:WORD_1
	v_add_f16_sdwa v83, v83, v0 dst_sel:DWORD dst_unused:UNUSED_PAD src0_sel:DWORD src1_sel:WORD_1
	;; [unrolled: 1-line block ×4, first 2 shown]
	v_add_f16_e32 v52, v52, v0
	v_add_f16_e32 v1, v1, v0
	v_add_f16_sdwa v0, v43, v0 dst_sel:DWORD dst_unused:UNUSED_PAD src0_sel:DWORD src1_sel:WORD_1
	v_add_f16_e32 v1, v2, v1
	v_add_f16_e32 v0, v40, v0
	;; [unrolled: 1-line block ×15, first 2 shown]
	v_sub_f16_e32 v54, v159, v54
	v_add_f16_e32 v1, v19, v1
	v_add_f16_e32 v0, v39, v0
	;; [unrolled: 1-line block ×7, first 2 shown]
	v_sub_f16_e32 v54, v226, v56
	v_add_f16_e32 v1, v22, v1
	v_add_f16_e32 v0, v44, v0
	;; [unrolled: 1-line block ×10, first 2 shown]
	v_sub_f16_e32 v54, v240, v58
	v_add_f16_e32 v1, v23, v1
	v_add_f16_e32 v0, v47, v0
	;; [unrolled: 1-line block ×11, first 2 shown]
	v_sub_f16_e32 v54, v245, v60
	v_add_f16_e32 v1, v20, v1
	v_add_f16_e32 v0, v45, v0
	v_mul_f16_e32 v191, 0xbacd, v182
	v_add_f16_e32 v158, v158, v237
	v_add_f16_e32 v102, v106, v102
	;; [unrolled: 1-line block ×10, first 2 shown]
	v_sub_f16_e32 v54, v127, v62
	v_add_f16_e32 v1, v21, v1
	v_add_f16_e32 v0, v46, v0
	v_add_f16_e32 v173, v185, v173
	v_mul_f16_e32 v185, 0x3722, v182
	v_mul_f16_e32 v224, 0x2de8, v182
	v_mul_f16_e32 v132, 0xbbdd, v179
	v_add_f16_e32 v151, v158, v151
	v_add_f16_e32 v158, v166, v244
	;; [unrolled: 1-line block ×11, first 2 shown]
	v_sub_f16_e32 v54, v188, v64
	v_add_f16_e32 v1, v24, v1
	v_add_f16_e32 v0, v48, v0
	v_mul_f16_e32 v238, 0xb8d2, v182
	v_mul_f16_e32 v95, 0x3b76, v179
	;; [unrolled: 1-line block ×3, first 2 shown]
	v_add_f16_e32 v151, v158, v151
	v_add_f16_e32 v114, v170, v114
	;; [unrolled: 1-line block ×11, first 2 shown]
	v_sub_f16_e32 v54, v130, v67
	v_add_f16_e32 v1, v25, v1
	v_add_f16_e32 v0, v49, v0
	v_mul_f16_e32 v182, 0xbbdd, v182
	v_mul_f16_e32 v210, 0x39e9, v179
	v_add_f16_e32 v114, v114, v151
	v_add_f16_e32 v151, v172, v186
	;; [unrolled: 1-line block ×12, first 2 shown]
	v_mul_f16_e32 v179, 0x3722, v179
	v_add_f16_e32 v114, v151, v114
	v_add_f16_e32 v151, v177, v182
	;; [unrolled: 1-line block ×6, first 2 shown]
	v_add_lshl_u32 v2, v28, v31, 2
	v_pack_b32_f16 v3, v52, v55
	v_pack_b32_f16 v0, v1, v0
	v_add_f16_e32 v114, v151, v114
	v_add_f16_e32 v151, v180, v179
	;; [unrolled: 1-line block ×3, first 2 shown]
	ds_write2_b32 v2, v0, v3 offset1:1
	v_pack_b32_f16 v0, v71, v82
	v_pack_b32_f16 v1, v53, v73
	v_add_f16_e32 v114, v151, v114
	ds_write2_b32 v2, v1, v0 offset0:2 offset1:3
	v_pack_b32_f16 v0, v72, v98
	v_pack_b32_f16 v1, v70, v96
	ds_write2_b32 v2, v1, v0 offset0:4 offset1:5
	v_pack_b32_f16 v0, v94, v173
	v_pack_b32_f16 v1, v85, v114
	;; [unrolled: 3-line block ×3, first 2 shown]
	s_mov_b32 s6, 0x5040100
	ds_write2_b32 v2, v1, v0 offset0:8 offset1:9
	v_perm_b32 v0, v77, v27, s6
	v_perm_b32 v1, v69, v26, s6
	ds_write2_b32 v2, v1, v0 offset0:10 offset1:11
	v_perm_b32 v0, v35, v14, s6
	v_perm_b32 v1, v36, v17, s6
	ds_write2_b32 v2, v1, v0 offset0:12 offset1:13
	v_perm_b32 v0, v33, v12, s6
	v_perm_b32 v1, v34, v15, s6
	ds_write2_b32 v2, v1, v0 offset0:14 offset1:15
	v_perm_b32 v0, v32, v13, s6
	ds_write_b32 v2, v0 offset:64
.LBB0_7:
	s_or_b64 exec, exec, s[0:1]
	v_add_lshl_u32 v37, v28, v8, 2
	s_waitcnt lgkmcnt(0)
	s_barrier
	ds_read2_b32 v[2:3], v37 offset1:34
	ds_read2_b32 v[0:1], v37 offset0:136 offset1:187
	ds_read2_b32 v[6:7], v37 offset0:221 offset1:255
	ds_read2_b32 v[4:5], v37 offset0:68 offset1:102
	v_add_u32_e32 v16, 0x400, v37
	ds_read2_b32 v[18:19], v16 offset0:33 offset1:67
	v_cmp_gt_u16_e64 s[0:1], 17, v8
	s_and_saveexec_b64 s[6:7], s[0:1]
	s_cbranch_execz .LBB0_9
; %bb.8:
	v_add_u32_e32 v16, 0x200, v37
	ds_read2_b32 v[26:27], v16 offset0:42 offset1:229
	s_waitcnt lgkmcnt(0)
	v_lshrrev_b32_e32 v69, 16, v26
	v_lshrrev_b32_e32 v77, 16, v27
.LBB0_9:
	s_or_b64 exec, exec, s[6:7]
	s_movk_i32 s6, 0xffef
	s_mov_b32 s7, -1
	v_lshl_add_u64 v[20:21], v[8:9], 0, s[6:7]
	v_add_u16_e32 v9, 34, v8
	s_movk_i32 s6, 0xf1
	v_add_u16_e32 v39, 0x66, v8
	v_cndmask_b32_e64 v21, v21, 0, s[0:1]
	v_cndmask_b32_e64 v20, v20, v8, s[0:1]
	v_mul_lo_u16_sdwa v16, v9, s6 dst_sel:DWORD dst_unused:UNUSED_PAD src0_sel:BYTE_0 src1_sel:DWORD
	v_mul_lo_u16_sdwa v40, v39, s6 dst_sel:DWORD dst_unused:UNUSED_PAD src0_sel:BYTE_0 src1_sel:DWORD
	v_lshl_add_u64 v[22:23], v[20:21], 2, s[4:5]
	v_lshrrev_b16_e32 v21, 12, v16
	v_lshrrev_b16_e32 v48, 12, v40
	v_mul_lo_u16_e32 v16, 17, v21
	v_add_u16_e32 v25, 0x44, v8
	v_mul_lo_u16_e32 v40, 17, v48
	global_load_dword v41, v[22:23], off
	v_add_u16_e32 v22, 0x88, v8
	v_sub_u16_e32 v24, v9, v16
	v_mov_b32_e32 v9, 2
	v_mul_lo_u16_sdwa v29, v25, s6 dst_sel:DWORD dst_unused:UNUSED_PAD src0_sel:BYTE_0 src1_sel:DWORD
	v_sub_u16_e32 v49, v39, v40
	v_mul_lo_u16_sdwa v23, v22, s6 dst_sel:DWORD dst_unused:UNUSED_PAD src0_sel:BYTE_0 src1_sel:DWORD
	v_lshlrev_b32_sdwa v16, v9, v24 dst_sel:DWORD dst_unused:UNUSED_PAD src0_sel:DWORD src1_sel:BYTE_0
	v_lshrrev_b16_e32 v29, 12, v29
	v_lshlrev_b32_sdwa v39, v9, v49 dst_sel:DWORD dst_unused:UNUSED_PAD src0_sel:DWORD src1_sel:BYTE_0
	v_lshrrev_b16_e32 v23, 12, v23
	v_mul_lo_u16_e32 v38, 17, v29
	global_load_dword v44, v16, s[4:5]
	global_load_dword v42, v39, s[4:5]
	v_mul_lo_u16_e32 v16, 17, v23
	v_sub_u16_e32 v25, v25, v38
	v_sub_u16_e32 v22, v22, v16
	v_lshlrev_b32_sdwa v38, v9, v25 dst_sel:DWORD dst_unused:UNUSED_PAD src0_sel:DWORD src1_sel:BYTE_0
	v_lshlrev_b32_sdwa v9, v9, v22 dst_sel:DWORD dst_unused:UNUSED_PAD src0_sel:DWORD src1_sel:BYTE_0
	global_load_dword v43, v38, s[4:5]
	global_load_dword v40, v9, s[4:5]
	v_add_u16_e32 v9, 0xaa, v8
	v_mul_lo_u16_sdwa v16, v9, s6 dst_sel:DWORD dst_unused:UNUSED_PAD src0_sel:BYTE_0 src1_sel:DWORD
	v_lshrrev_b16_e32 v16, 12, v16
	v_mul_lo_u16_e32 v16, 17, v16
	v_sub_u16_e32 v38, v9, v16
	v_and_b32_e32 v9, 0xff, v38
	v_lshlrev_b32_e32 v16, 2, v9
	global_load_dword v39, v16, s[4:5]
	s_waitcnt lgkmcnt(3)
	v_lshrrev_b32_e32 v45, 16, v1
	s_waitcnt lgkmcnt(2)
	v_lshrrev_b32_e32 v47, 16, v6
	v_lshrrev_b32_e32 v16, 16, v2
	;; [unrolled: 1-line block ×3, first 2 shown]
	s_waitcnt lgkmcnt(0)
	v_lshrrev_b32_e32 v53, 16, v18
	v_lshrrev_b32_e32 v55, 16, v19
	;; [unrolled: 1-line block ×3, first 2 shown]
	s_load_dwordx4 s[8:11], s[2:3], 0x0
	v_cmp_lt_u16_e64 s[2:3], 16, v8
	v_lshrrev_b32_e32 v46, 16, v3
	s_waitcnt lgkmcnt(0)
	s_barrier
	v_lshrrev_b32_e32 v52, 16, v5
	v_lshrrev_b32_e32 v54, 16, v0
	s_waitcnt vmcnt(5)
	v_mul_f16_sdwa v56, v45, v41 dst_sel:DWORD dst_unused:UNUSED_PAD src0_sel:DWORD src1_sel:WORD_1
	v_mul_f16_sdwa v57, v1, v41 dst_sel:DWORD dst_unused:UNUSED_PAD src0_sel:DWORD src1_sel:WORD_1
	v_fma_f16 v1, v1, v41, -v56
	v_fma_f16 v45, v45, v41, v57
	v_sub_f16_e32 v64, v16, v45
	v_sub_f16_e32 v1, v2, v1
	v_fma_f16 v2, v2, 2.0, -v1
	v_pack_b32_f16 v1, v1, v64
	s_waitcnt vmcnt(4)
	v_mul_f16_sdwa v56, v47, v44 dst_sel:DWORD dst_unused:UNUSED_PAD src0_sel:DWORD src1_sel:WORD_1
	v_mul_f16_sdwa v57, v6, v44 dst_sel:DWORD dst_unused:UNUSED_PAD src0_sel:DWORD src1_sel:WORD_1
	s_waitcnt vmcnt(3)
	v_mul_f16_sdwa v61, v18, v42 dst_sel:DWORD dst_unused:UNUSED_PAD src0_sel:DWORD src1_sel:WORD_1
	v_mul_f16_sdwa v60, v53, v42 dst_sel:DWORD dst_unused:UNUSED_PAD src0_sel:DWORD src1_sel:WORD_1
	v_fma_f16 v6, v6, v44, -v56
	v_fma_f16 v45, v47, v44, v57
	v_fma_f16 v57, v16, 2.0, -v64
	s_waitcnt vmcnt(2)
	v_mul_f16_sdwa v59, v7, v43 dst_sel:DWORD dst_unused:UNUSED_PAD src0_sel:DWORD src1_sel:WORD_1
	s_waitcnt vmcnt(1)
	v_mul_f16_sdwa v63, v19, v40 dst_sel:DWORD dst_unused:UNUSED_PAD src0_sel:DWORD src1_sel:WORD_1
	v_mul_f16_sdwa v58, v51, v43 dst_sel:DWORD dst_unused:UNUSED_PAD src0_sel:DWORD src1_sel:WORD_1
	;; [unrolled: 1-line block ×3, first 2 shown]
	v_fma_f16 v47, v51, v43, v59
	v_fma_f16 v51, v53, v42, v61
	;; [unrolled: 1-line block ×3, first 2 shown]
	v_fma_f16 v7, v7, v43, -v58
	v_pack_b32_f16 v2, v2, v57
	s_waitcnt vmcnt(0)
	v_mul_f16_sdwa v55, v77, v39 dst_sel:DWORD dst_unused:UNUSED_PAD src0_sel:DWORD src1_sel:WORD_1
	v_mul_f16_sdwa v56, v27, v39 dst_sel:DWORD dst_unused:UNUSED_PAD src0_sel:DWORD src1_sel:WORD_1
	v_fma_f16 v16, v27, v39, -v55
	v_fma_f16 v27, v77, v39, v56
	v_sub_f16_e32 v56, v50, v47
	v_fma_f16 v58, v50, 2.0, -v56
	v_sub_f16_e32 v50, v69, v27
	v_cndmask_b32_e64 v27, 0, 34, s[2:3]
	v_add_u32_e32 v20, v20, v27
	v_sub_f16_e32 v55, v46, v45
	v_add_lshl_u32 v45, v28, v20, 2
	v_sub_f16_e32 v6, v3, v6
	ds_write2_b32 v45, v2, v1 offset1:17
	v_mad_legacy_u16 v1, v21, 34, v24
	v_fma_f16 v3, v3, 2.0, -v6
	v_fma_f16 v47, v46, 2.0, -v55
	v_and_b32_e32 v1, 0xff, v1
	v_add_lshl_u32 v46, v28, v1, 2
	v_pack_b32_f16 v1, v3, v47
	v_pack_b32_f16 v2, v6, v55
	v_sub_f16_e32 v7, v4, v7
	ds_write2_b32 v46, v1, v2 offset1:17
	v_mul_u32_u24_e32 v1, 34, v29
	v_fma_f16 v4, v4, 2.0, -v7
	v_add_u32_sdwa v1, v1, v25 dst_sel:DWORD dst_unused:UNUSED_PAD src0_sel:DWORD src1_sel:BYTE_0
	v_fma_f16 v18, v18, v42, -v60
	v_add_lshl_u32 v47, v28, v1, 2
	v_pack_b32_f16 v1, v4, v58
	v_pack_b32_f16 v2, v7, v56
	v_sub_f16_e32 v18, v5, v18
	v_sub_f16_e32 v51, v52, v51
	ds_write2_b32 v47, v1, v2 offset1:17
	v_mul_u32_u24_e32 v1, 34, v48
	v_fma_f16 v5, v5, 2.0, -v18
	v_fma_f16 v52, v52, 2.0, -v51
	v_add_u32_sdwa v1, v1, v49 dst_sel:DWORD dst_unused:UNUSED_PAD src0_sel:DWORD src1_sel:BYTE_0
	v_fma_f16 v19, v19, v40, -v62
	v_add_lshl_u32 v48, v28, v1, 2
	v_pack_b32_f16 v1, v5, v52
	v_pack_b32_f16 v2, v18, v51
	v_sub_f16_e32 v19, v0, v19
	v_sub_f16_e32 v53, v54, v53
	ds_write2_b32 v48, v1, v2 offset1:17
	v_mul_u32_u24_e32 v1, 34, v23
	v_fma_f16 v0, v0, 2.0, -v19
	v_fma_f16 v54, v54, 2.0, -v53
	v_add_u32_sdwa v1, v1, v22 dst_sel:DWORD dst_unused:UNUSED_PAD src0_sel:DWORD src1_sel:BYTE_0
	v_sub_f16_e32 v16, v26, v16
	v_add_lshl_u32 v49, v28, v1, 2
	v_pack_b32_f16 v0, v0, v54
	v_pack_b32_f16 v1, v19, v53
	ds_write2_b32 v49, v0, v1 offset1:17
	s_and_saveexec_b64 s[2:3], s[0:1]
	s_cbranch_execz .LBB0_11
; %bb.10:
	v_fma_f16 v0, v26, 2.0, -v16
	v_fma_f16 v1, v69, 2.0, -v50
	v_add_lshl_u32 v2, v28, v9, 2
	s_mov_b32 s6, 0x5040100
	v_pack_b32_f16 v0, v0, v1
	v_perm_b32 v1, v50, v16, s6
	v_add_u32_e32 v2, 0x400, v2
	ds_write2_b32 v2, v0, v1 offset0:84 offset1:101
.LBB0_11:
	s_or_b64 exec, exec, s[2:3]
	v_mad_u64_u32 v[20:21], s[2:3], v8, 40, s[4:5]
	s_waitcnt lgkmcnt(0)
	s_barrier
	global_load_dwordx4 v[0:3], v[20:21], off offset:68
	global_load_dwordx4 v[4:7], v[20:21], off offset:84
	global_load_dwordx2 v[18:19], v[20:21], off offset:100
	v_add_u32_e32 v26, 0x200, v37
	v_add_u32_e32 v28, 0x400, v37
	ds_read2_b32 v[20:21], v37 offset1:34
	ds_read2_b32 v[22:23], v37 offset0:68 offset1:102
	ds_read_b32 v9, v37 offset:544
	ds_read2_b32 v[24:25], v37 offset0:170 offset1:204
	ds_read2_b32 v[26:27], v26 offset0:110 offset1:144
	;; [unrolled: 1-line block ×3, first 2 shown]
	s_waitcnt lgkmcnt(5)
	v_lshrrev_b32_e32 v51, 16, v21
	s_waitcnt lgkmcnt(4)
	v_lshrrev_b32_e32 v52, 16, v22
	v_lshrrev_b32_e32 v53, 16, v23
	s_waitcnt lgkmcnt(3)
	v_lshrrev_b32_e32 v54, 16, v9
	s_waitcnt lgkmcnt(0)
	v_lshrrev_b32_e32 v60, 16, v29
	v_lshrrev_b32_e32 v55, 16, v24
	;; [unrolled: 1-line block ×6, first 2 shown]
	s_movk_i32 s2, 0x3abb
	s_movk_i32 s3, 0x36a6
	s_mov_b32 s4, 0xb08e
	s_mov_b32 s5, 0xb93d
	;; [unrolled: 1-line block ×3, first 2 shown]
	s_waitcnt vmcnt(2)
	v_mul_f16_sdwa v61, v51, v0 dst_sel:DWORD dst_unused:UNUSED_PAD src0_sel:DWORD src1_sel:WORD_1
	v_mul_f16_sdwa v62, v21, v0 dst_sel:DWORD dst_unused:UNUSED_PAD src0_sel:DWORD src1_sel:WORD_1
	;; [unrolled: 1-line block ×4, first 2 shown]
	s_waitcnt vmcnt(0)
	v_mul_f16_sdwa v80, v29, v19 dst_sel:DWORD dst_unused:UNUSED_PAD src0_sel:DWORD src1_sel:WORD_1
	v_fma_f16 v21, v21, v0, -v61
	v_fma_f16 v51, v51, v0, v62
	v_mul_f16_sdwa v65, v53, v2 dst_sel:DWORD dst_unused:UNUSED_PAD src0_sel:DWORD src1_sel:WORD_1
	v_mul_f16_sdwa v66, v23, v2 dst_sel:DWORD dst_unused:UNUSED_PAD src0_sel:DWORD src1_sel:WORD_1
	v_mul_f16_sdwa v79, v60, v19 dst_sel:DWORD dst_unused:UNUSED_PAD src0_sel:DWORD src1_sel:WORD_1
	v_fma_f16 v22, v22, v1, -v63
	v_fma_f16 v61, v52, v1, v64
	v_fma_f16 v52, v60, v19, v80
	v_add_f16_e32 v60, v20, v21
	v_add_f16_sdwa v62, v20, v51 dst_sel:DWORD dst_unused:UNUSED_PAD src0_sel:WORD_1 src1_sel:DWORD
	v_mul_f16_sdwa v68, v9, v3 dst_sel:DWORD dst_unused:UNUSED_PAD src0_sel:DWORD src1_sel:WORD_1
	v_fma_f16 v23, v23, v2, -v65
	v_fma_f16 v53, v53, v2, v66
	v_add_f16_e32 v64, v51, v52
	v_sub_f16_e32 v65, v51, v52
	v_add_f16_e32 v51, v60, v22
	v_add_f16_e32 v60, v62, v61
	v_mul_f16_sdwa v67, v54, v3 dst_sel:DWORD dst_unused:UNUSED_PAD src0_sel:DWORD src1_sel:WORD_1
	v_mul_f16_sdwa v70, v24, v4 dst_sel:DWORD dst_unused:UNUSED_PAD src0_sel:DWORD src1_sel:WORD_1
	v_fma_f16 v54, v54, v3, v68
	v_add_f16_e32 v60, v60, v53
	v_mul_f16_sdwa v69, v55, v4 dst_sel:DWORD dst_unused:UNUSED_PAD src0_sel:DWORD src1_sel:WORD_1
	v_mul_f16_sdwa v72, v25, v5 dst_sel:DWORD dst_unused:UNUSED_PAD src0_sel:DWORD src1_sel:WORD_1
	v_fma_f16 v9, v9, v3, -v67
	v_fma_f16 v55, v55, v4, v70
	v_add_f16_e32 v51, v51, v23
	v_add_f16_e32 v60, v60, v54
	v_mul_f16_sdwa v71, v56, v5 dst_sel:DWORD dst_unused:UNUSED_PAD src0_sel:DWORD src1_sel:WORD_1
	v_mul_f16_sdwa v74, v26, v6 dst_sel:DWORD dst_unused:UNUSED_PAD src0_sel:DWORD src1_sel:WORD_1
	v_fma_f16 v24, v24, v4, -v69
	v_fma_f16 v56, v56, v5, v72
	v_add_f16_e32 v51, v51, v9
	;; [unrolled: 6-line block ×4, first 2 shown]
	v_add_f16_e32 v60, v60, v57
	v_mul_f16_sdwa v77, v59, v18 dst_sel:DWORD dst_unused:UNUSED_PAD src0_sel:DWORD src1_sel:WORD_1
	v_fma_f16 v27, v27, v7, -v75
	v_fma_f16 v59, v59, v18, v78
	v_fma_f16 v29, v29, v19, -v79
	v_add_f16_e32 v51, v51, v26
	v_add_f16_e32 v60, v60, v58
	v_fma_f16 v28, v28, v18, -v77
	v_add_f16_e32 v63, v21, v29
	v_sub_f16_e32 v21, v21, v29
	v_mul_f16_e32 v62, 0xb853, v65
	v_add_f16_e32 v51, v51, v27
	v_add_f16_e32 v60, v60, v59
	v_fma_f16 v66, v63, s2, -v62
	v_add_f16_e32 v51, v51, v28
	v_add_f16_e32 v52, v60, v52
	v_mul_f16_e32 v60, 0xb853, v21
	v_mul_f16_e32 v67, 0xbb47, v65
	;; [unrolled: 1-line block ×9, first 2 shown]
	v_add_f16_e32 v51, v51, v29
	v_add_f16_e32 v29, v20, v66
	v_fma_f16 v66, v64, s2, v60
	v_fma_f16 v62, v63, s2, v62
	v_fma_f16 v60, v64, s2, -v60
	v_fma_f16 v68, v63, s3, -v67
	v_fma_f16 v70, v64, s3, v69
	v_fma_f16 v67, v63, s3, v67
	v_fma_f16 v69, v64, s3, -v69
	v_fma_f16 v72, v63, s4, -v71
	;; [unrolled: 4-line block ×4, first 2 shown]
	v_fma_f16 v80, v64, s6, v21
	v_fma_f16 v63, v63, s6, v65
	v_fma_f16 v21, v64, s6, -v21
	v_add_f16_sdwa v66, v20, v66 dst_sel:DWORD dst_unused:UNUSED_PAD src0_sel:WORD_1 src1_sel:DWORD
	v_add_f16_e32 v62, v20, v62
	v_add_f16_sdwa v60, v20, v60 dst_sel:DWORD dst_unused:UNUSED_PAD src0_sel:WORD_1 src1_sel:DWORD
	v_add_f16_e32 v68, v20, v68
	;; [unrolled: 2-line block ×10, first 2 shown]
	v_sub_f16_e32 v22, v22, v28
	v_sub_f16_e32 v28, v61, v59
	v_add_f16_e32 v64, v61, v59
	v_mul_f16_e32 v59, 0xbb47, v28
	v_fma_f16 v61, v21, s3, -v59
	v_add_f16_e32 v29, v61, v29
	v_mul_f16_e32 v61, 0xbb47, v22
	v_fma_f16 v65, v64, s3, v61
	v_fma_f16 v61, v64, s3, -v61
	v_fma_f16 v59, v21, s3, v59
	v_add_f16_e32 v60, v61, v60
	v_mul_f16_e32 v61, 0xba0c, v28
	v_add_f16_e32 v65, v65, v66
	v_add_f16_e32 v59, v59, v62
	v_fma_f16 v62, v21, s5, -v61
	v_mul_f16_e32 v66, 0xba0c, v22
	v_fma_f16 v61, v21, s5, v61
	v_add_f16_e32 v62, v62, v68
	v_fma_f16 v68, v64, s5, v66
	v_add_f16_e32 v61, v61, v67
	v_fma_f16 v66, v64, s5, -v66
	v_mul_f16_e32 v67, 0x3482, v28
	v_add_f16_e32 v68, v68, v70
	v_add_f16_e32 v66, v66, v69
	v_fma_f16 v69, v21, s6, -v67
	v_mul_f16_e32 v70, 0x3482, v22
	v_fma_f16 v67, v21, s6, v67
	v_add_f16_e32 v69, v69, v72
	v_fma_f16 v72, v64, s6, v70
	v_add_f16_e32 v67, v67, v71
	v_fma_f16 v70, v64, s6, -v70
	v_mul_f16_e32 v71, 0x3beb, v28
	v_add_f16_e32 v72, v72, v74
	v_add_f16_e32 v70, v70, v73
	v_fma_f16 v73, v21, s4, -v71
	v_mul_f16_e32 v74, 0x3beb, v22
	v_add_f16_e32 v73, v73, v76
	v_fma_f16 v76, v64, s4, v74
	v_fma_f16 v74, v64, s4, -v74
	v_mul_f16_e32 v22, 0x3853, v22
	v_add_f16_e32 v74, v74, v77
	v_fma_f16 v77, v64, s2, v22
	v_fma_f16 v22, v64, s2, -v22
	v_fma_f16 v71, v21, s4, v71
	v_mul_f16_e32 v28, 0x3853, v28
	v_add_f16_e32 v20, v22, v20
	v_add_f16_e32 v22, v23, v27
	v_sub_f16_e32 v23, v23, v27
	v_sub_f16_e32 v27, v53, v58
	v_add_f16_e32 v71, v71, v75
	v_fma_f16 v75, v21, s2, -v28
	v_fma_f16 v21, v21, s2, v28
	v_add_f16_e32 v28, v53, v58
	v_mul_f16_e32 v53, 0xbbeb, v27
	v_fma_f16 v58, v22, s4, -v53
	v_add_f16_e32 v29, v58, v29
	v_mul_f16_e32 v58, 0xbbeb, v23
	v_fma_f16 v53, v22, s4, v53
	v_add_f16_e32 v21, v21, v63
	v_fma_f16 v63, v28, s4, v58
	v_add_f16_e32 v53, v53, v59
	v_fma_f16 v58, v28, s4, -v58
	v_mul_f16_e32 v59, 0x3482, v27
	v_add_f16_e32 v58, v58, v60
	v_fma_f16 v60, v22, s6, -v59
	v_add_f16_e32 v60, v60, v62
	v_mul_f16_e32 v62, 0x3482, v23
	v_fma_f16 v59, v22, s6, v59
	v_fma_f16 v64, v28, s6, v62
	v_add_f16_e32 v59, v59, v61
	v_fma_f16 v61, v28, s6, -v62
	v_mul_f16_e32 v62, 0x3b47, v27
	v_add_f16_e32 v63, v63, v65
	v_fma_f16 v65, v22, s3, -v62
	v_fma_f16 v62, v22, s3, v62
	v_add_f16_e32 v61, v61, v66
	v_mul_f16_e32 v66, 0x3b47, v23
	v_add_f16_e32 v62, v62, v67
	v_mul_f16_e32 v67, 0xb853, v27
	v_add_f16_e32 v64, v64, v68
	v_add_f16_e32 v65, v65, v69
	v_fma_f16 v68, v28, s3, v66
	v_fma_f16 v66, v28, s3, -v66
	v_fma_f16 v69, v22, s2, -v67
	v_fma_f16 v67, v22, s2, v67
	v_mul_f16_e32 v27, 0xba0c, v27
	v_add_f16_e32 v66, v66, v70
	v_mul_f16_e32 v70, 0xb853, v23
	v_add_f16_e32 v67, v67, v71
	v_fma_f16 v71, v22, s5, -v27
	v_mul_f16_e32 v23, 0xba0c, v23
	v_fma_f16 v22, v22, s5, v27
	v_add_f16_e32 v21, v22, v21
	v_fma_f16 v22, v28, s5, -v23
	v_add_f16_e32 v20, v22, v20
	v_add_f16_e32 v22, v9, v26
	v_sub_f16_e32 v9, v9, v26
	v_sub_f16_e32 v26, v54, v57
	v_mul_f16_e32 v27, 0xba0c, v26
	v_add_f16_e32 v68, v68, v72
	v_add_f16_e32 v69, v69, v73
	v_fma_f16 v72, v28, s2, v70
	v_fma_f16 v70, v28, s2, -v70
	v_fma_f16 v73, v28, s5, v23
	v_fma_f16 v28, v22, s5, -v27
	v_fma_f16 v27, v22, s5, v27
	v_add_f16_e32 v23, v54, v57
	v_add_f16_e32 v28, v28, v29
	v_mul_f16_e32 v29, 0xba0c, v9
	v_add_f16_e32 v27, v27, v53
	v_mul_f16_e32 v53, 0x3beb, v26
	v_fma_f16 v54, v23, s5, v29
	v_fma_f16 v29, v23, s5, -v29
	v_fma_f16 v57, v22, s4, -v53
	v_add_f16_e32 v29, v29, v58
	v_add_f16_e32 v58, v57, v60
	v_mul_f16_e32 v57, 0x3beb, v9
	v_fma_f16 v53, v22, s4, v53
	v_add_f16_e32 v59, v53, v59
	v_fma_f16 v53, v23, s4, -v57
	v_add_f16_e32 v61, v53, v61
	v_mul_f16_e32 v53, 0xb853, v26
	v_fma_f16 v60, v23, s4, v57
	v_fma_f16 v57, v22, s2, -v53
	v_add_f16_e32 v54, v54, v63
	v_add_f16_e32 v63, v57, v65
	v_mul_f16_e32 v57, 0xb853, v9
	v_fma_f16 v53, v22, s2, v53
	v_add_f16_e32 v62, v53, v62
	v_fma_f16 v53, v23, s2, -v57
	v_add_f16_e32 v65, v53, v66
	v_mul_f16_e32 v53, 0xb482, v26
	v_add_f16_e32 v60, v60, v64
	v_fma_f16 v64, v23, s2, v57
	v_fma_f16 v57, v22, s6, -v53
	v_add_f16_e32 v66, v57, v69
	v_mul_f16_e32 v57, 0xb482, v9
	v_fma_f16 v53, v22, s6, v53
	v_add_f16_e32 v75, v75, v79
	v_add_f16_e32 v70, v70, v74
	;; [unrolled: 1-line block ×3, first 2 shown]
	v_fma_f16 v53, v23, s6, -v57
	v_mul_f16_e32 v26, 0x3b47, v26
	v_add_f16_e32 v76, v76, v78
	v_add_f16_e32 v77, v77, v80
	;; [unrolled: 1-line block ×4, first 2 shown]
	v_fma_f16 v53, v22, s3, -v26
	v_mul_f16_e32 v9, 0x3b47, v9
	v_add_f16_e32 v72, v72, v76
	v_add_f16_e32 v73, v73, v77
	;; [unrolled: 1-line block ×3, first 2 shown]
	v_fma_f16 v68, v23, s6, v57
	v_add_f16_e32 v70, v53, v71
	v_fma_f16 v53, v23, s3, v9
	v_fma_f16 v22, v22, s3, v26
	v_sub_f16_e32 v75, v24, v25
	v_sub_f16_e32 v76, v55, v56
	v_add_f16_e32 v68, v68, v72
	v_add_f16_e32 v71, v53, v73
	;; [unrolled: 1-line block ×3, first 2 shown]
	v_fma_f16 v9, v23, s3, -v9
	v_add_f16_e32 v73, v24, v25
	v_add_f16_e32 v74, v55, v56
	v_mul_f16_e32 v21, 0xb482, v76
	v_mul_f16_e32 v22, 0xb482, v75
	v_add_f16_e32 v9, v9, v20
	v_fma_f16 v20, v73, s6, -v21
	v_fma_f16 v23, v74, s6, v22
	v_fma_f16 v21, v73, s6, v21
	v_add_f16_e32 v53, v23, v54
	v_add_f16_e32 v25, v21, v27
	v_fma_f16 v21, v74, s6, -v22
	v_mul_f16_e32 v22, 0x3853, v76
	v_mul_f16_e32 v23, 0x3853, v75
	v_add_f16_e32 v57, v21, v29
	v_fma_f16 v21, v73, s2, -v22
	v_fma_f16 v24, v74, s2, v23
	v_fma_f16 v22, v73, s2, v22
	v_add_f16_e32 v54, v24, v60
	v_add_f16_e32 v24, v22, v59
	v_fma_f16 v22, v74, s2, -v23
	v_mul_f16_e32 v23, 0xba0c, v76
	v_mul_f16_e32 v26, 0xba0c, v75
	v_add_f16_e32 v56, v22, v61
	v_fma_f16 v22, v73, s5, -v23
	v_fma_f16 v27, v74, s5, v26
	v_fma_f16 v23, v73, s5, v23
	v_add_f16_e32 v20, v20, v28
	v_add_f16_e32 v55, v27, v64
	;; [unrolled: 1-line block ×3, first 2 shown]
	v_mul_f16_e32 v28, 0x3b47, v75
	v_mul_f16_e32 v62, 0xbbeb, v75
	v_fma_f16 v23, v74, s5, -v26
	v_mul_f16_e32 v26, 0x3b47, v76
	v_fma_f16 v29, v74, s3, v28
	v_fma_f16 v61, v74, s4, v62
	v_fma_f16 v62, v74, s4, -v62
	v_add_f16_e32 v21, v21, v58
	v_add_f16_e32 v22, v22, v63
	;; [unrolled: 1-line block ×3, first 2 shown]
	v_fma_f16 v23, v73, s3, -v26
	v_add_f16_e32 v58, v29, v68
	v_fma_f16 v28, v74, s3, -v28
	v_mul_f16_e32 v29, 0xbbeb, v76
	v_add_f16_e32 v62, v62, v9
	v_lshl_add_u32 v9, v8, 2, v30
	v_pack_b32_f16 v63, v51, v52
	v_add_f16_e32 v23, v23, v66
	v_add_f16_e32 v60, v28, v69
	v_fma_f16 v28, v73, s4, -v29
	v_fma_f16 v29, v73, s4, v29
	ds_write_b32 v9, v63
	v_pack_b32_f16 v63, v20, v53
	v_pack_b32_f16 v64, v21, v54
	v_fma_f16 v26, v73, s3, v26
	v_add_f16_e32 v28, v28, v70
	v_add_f16_e32 v61, v61, v71
	;; [unrolled: 1-line block ×3, first 2 shown]
	ds_write2_b32 v9, v63, v64 offset0:34 offset1:68
	v_pack_b32_f16 v63, v22, v55
	v_pack_b32_f16 v64, v23, v58
	v_add_f16_e32 v26, v26, v67
	ds_write2_b32 v9, v63, v64 offset0:102 offset1:136
	v_pack_b32_f16 v63, v28, v61
	v_pack_b32_f16 v64, v29, v62
	ds_write2_b32 v9, v63, v64 offset0:170 offset1:204
	v_pack_b32_f16 v63, v26, v60
	v_pack_b32_f16 v65, v27, v59
	v_add_u32_e32 v64, 0x200, v9
	ds_write2_b32 v64, v63, v65 offset0:110 offset1:144
	v_pack_b32_f16 v65, v24, v56
	v_pack_b32_f16 v66, v25, v57
	v_add_u32_e32 v63, 0x400, v9
	ds_write2_b32 v63, v65, v66 offset0:50 offset1:84
	s_waitcnt lgkmcnt(0)
	s_barrier
	s_and_saveexec_b64 s[2:3], vcc
	s_cbranch_execz .LBB0_13
; %bb.12:
	global_load_dword v65, v11, s[12:13] offset:1496
	s_add_u32 s4, s12, 0x5d8
	s_addc_u32 s5, s13, 0
	global_load_dword v78, v11, s[4:5] offset:88
	global_load_dword v79, v11, s[4:5] offset:176
	;; [unrolled: 1-line block ×10, first 2 shown]
	ds_read_b32 v66, v9
	global_load_dword v88, v11, s[4:5] offset:968
	global_load_dword v89, v11, s[4:5] offset:1056
	;; [unrolled: 1-line block ×6, first 2 shown]
	s_waitcnt lgkmcnt(0)
	v_lshrrev_b32_e32 v67, 16, v66
	s_waitcnt vmcnt(16)
	v_mul_f16_sdwa v68, v67, v65 dst_sel:DWORD dst_unused:UNUSED_PAD src0_sel:DWORD src1_sel:WORD_1
	v_mul_f16_sdwa v69, v66, v65 dst_sel:DWORD dst_unused:UNUSED_PAD src0_sel:DWORD src1_sel:WORD_1
	v_fma_f16 v66, v66, v65, -v68
	v_fma_f16 v65, v67, v65, v69
	v_pack_b32_f16 v65, v66, v65
	ds_write_b32 v9, v65
	ds_read2_b32 v[66:67], v9 offset0:22 offset1:44
	ds_read2_b32 v[68:69], v9 offset0:66 offset1:88
	;; [unrolled: 1-line block ×6, first 2 shown]
	s_waitcnt lgkmcnt(5)
	v_lshrrev_b32_e32 v65, 16, v66
	s_waitcnt vmcnt(15)
	v_mul_f16_sdwa v94, v66, v78 dst_sel:DWORD dst_unused:UNUSED_PAD src0_sel:DWORD src1_sel:WORD_1
	v_lshrrev_b32_e32 v95, 16, v67
	s_waitcnt vmcnt(14)
	v_mul_f16_sdwa v96, v67, v79 dst_sel:DWORD dst_unused:UNUSED_PAD src0_sel:DWORD src1_sel:WORD_1
	s_waitcnt lgkmcnt(4)
	v_lshrrev_b32_e32 v97, 16, v68
	s_waitcnt vmcnt(13)
	v_mul_f16_sdwa v98, v68, v80 dst_sel:DWORD dst_unused:UNUSED_PAD src0_sel:DWORD src1_sel:WORD_1
	v_lshrrev_b32_e32 v99, 16, v69
	s_waitcnt vmcnt(12)
	v_mul_f16_sdwa v100, v69, v81 dst_sel:DWORD dst_unused:UNUSED_PAD src0_sel:DWORD src1_sel:WORD_1
	;; [unrolled: 7-line block ×3, first 2 shown]
	s_waitcnt lgkmcnt(2)
	v_lshrrev_b32_e32 v105, 16, v72
	s_waitcnt vmcnt(9)
	v_mul_f16_sdwa v106, v72, v84 dst_sel:DWORD dst_unused:UNUSED_PAD src0_sel:DWORD src1_sel:WORD_1
	v_lshrrev_b32_e32 v107, 16, v73
	v_mul_f16_sdwa v112, v65, v78 dst_sel:DWORD dst_unused:UNUSED_PAD src0_sel:DWORD src1_sel:WORD_1
	v_fma_f16 v65, v65, v78, v94
	v_mul_f16_sdwa v94, v95, v79 dst_sel:DWORD dst_unused:UNUSED_PAD src0_sel:DWORD src1_sel:WORD_1
	s_waitcnt vmcnt(8)
	v_mul_f16_sdwa v108, v73, v85 dst_sel:DWORD dst_unused:UNUSED_PAD src0_sel:DWORD src1_sel:WORD_1
	v_fma_f16 v95, v95, v79, v96
	v_mul_f16_sdwa v96, v97, v80 dst_sel:DWORD dst_unused:UNUSED_PAD src0_sel:DWORD src1_sel:WORD_1
	v_fma_f16 v97, v97, v80, v98
	;; [unrolled: 2-line block ×6, first 2 shown]
	v_mul_f16_sdwa v106, v107, v85 dst_sel:DWORD dst_unused:UNUSED_PAD src0_sel:DWORD src1_sel:WORD_1
	v_fma_f16 v66, v66, v78, -v112
	v_fma_f16 v67, v67, v79, -v94
	s_waitcnt lgkmcnt(1)
	v_lshrrev_b32_e32 v109, 16, v74
	s_waitcnt vmcnt(7)
	v_mul_f16_sdwa v110, v74, v86 dst_sel:DWORD dst_unused:UNUSED_PAD src0_sel:DWORD src1_sel:WORD_1
	v_lshrrev_b32_e32 v111, 16, v75
	v_fma_f16 v107, v107, v85, v108
	v_fma_f16 v68, v68, v80, -v96
	v_fma_f16 v69, v69, v81, -v98
	v_fma_f16 v70, v70, v82, -v100
	v_fma_f16 v71, v71, v83, -v102
	v_fma_f16 v72, v72, v84, -v104
	v_fma_f16 v73, v73, v85, -v106
	v_pack_b32_f16 v65, v66, v65
	v_pack_b32_f16 v66, v67, v95
	v_mul_f16_sdwa v108, v109, v86 dst_sel:DWORD dst_unused:UNUSED_PAD src0_sel:DWORD src1_sel:WORD_1
	v_fma_f16 v109, v109, v86, v110
	s_waitcnt vmcnt(6)
	v_mul_f16_sdwa v110, v111, v87 dst_sel:DWORD dst_unused:UNUSED_PAD src0_sel:DWORD src1_sel:WORD_1
	v_pack_b32_f16 v67, v68, v97
	v_pack_b32_f16 v68, v69, v99
	;; [unrolled: 1-line block ×6, first 2 shown]
	ds_write2_b32 v9, v65, v66 offset0:22 offset1:44
	ds_write2_b32 v9, v67, v68 offset0:66 offset1:88
	;; [unrolled: 1-line block ×4, first 2 shown]
	v_mul_f16_sdwa v65, v75, v87 dst_sel:DWORD dst_unused:UNUSED_PAD src0_sel:DWORD src1_sel:WORD_1
	v_fma_f16 v74, v74, v86, -v108
	v_fma_f16 v78, v75, v87, -v110
	v_fma_f16 v65, v111, v87, v65
	v_pack_b32_f16 v73, v74, v109
	v_pack_b32_f16 v65, v78, v65
	ds_write2_b32 v9, v73, v65 offset0:198 offset1:220
	s_waitcnt lgkmcnt(5)
	v_lshrrev_b32_e32 v65, 16, v76
	s_waitcnt vmcnt(5)
	v_mul_f16_sdwa v66, v65, v88 dst_sel:DWORD dst_unused:UNUSED_PAD src0_sel:DWORD src1_sel:WORD_1
	v_mul_f16_sdwa v67, v76, v88 dst_sel:DWORD dst_unused:UNUSED_PAD src0_sel:DWORD src1_sel:WORD_1
	v_fma_f16 v66, v76, v88, -v66
	v_fma_f16 v65, v65, v88, v67
	v_lshrrev_b32_e32 v68, 16, v77
	v_pack_b32_f16 v65, v66, v65
	s_waitcnt vmcnt(4)
	v_mul_f16_sdwa v66, v68, v89 dst_sel:DWORD dst_unused:UNUSED_PAD src0_sel:DWORD src1_sel:WORD_1
	v_fma_f16 v69, v77, v89, -v66
	ds_read2_b32 v[66:67], v63 offset0:30 offset1:52
	v_mul_f16_sdwa v70, v77, v89 dst_sel:DWORD dst_unused:UNUSED_PAD src0_sel:DWORD src1_sel:WORD_1
	v_fma_f16 v68, v68, v89, v70
	v_pack_b32_f16 v68, v69, v68
	ds_write2_b32 v64, v65, v68 offset0:114 offset1:136
	s_waitcnt lgkmcnt(1)
	v_lshrrev_b32_e32 v64, 16, v66
	s_waitcnt vmcnt(3)
	v_mul_f16_sdwa v65, v64, v90 dst_sel:DWORD dst_unused:UNUSED_PAD src0_sel:DWORD src1_sel:WORD_1
	v_fma_f16 v65, v66, v90, -v65
	v_mul_f16_sdwa v66, v66, v90 dst_sel:DWORD dst_unused:UNUSED_PAD src0_sel:DWORD src1_sel:WORD_1
	v_fma_f16 v64, v64, v90, v66
	v_lshrrev_b32_e32 v68, 16, v67
	v_pack_b32_f16 v66, v65, v64
	s_waitcnt vmcnt(2)
	v_mul_f16_sdwa v64, v68, v91 dst_sel:DWORD dst_unused:UNUSED_PAD src0_sel:DWORD src1_sel:WORD_1
	v_fma_f16 v69, v67, v91, -v64
	ds_read2_b32 v[64:65], v63 offset0:74 offset1:96
	v_mul_f16_sdwa v67, v67, v91 dst_sel:DWORD dst_unused:UNUSED_PAD src0_sel:DWORD src1_sel:WORD_1
	v_fma_f16 v67, v68, v91, v67
	v_pack_b32_f16 v67, v69, v67
	ds_write2_b32 v63, v66, v67 offset0:30 offset1:52
	s_waitcnt lgkmcnt(1)
	v_lshrrev_b32_e32 v66, 16, v64
	s_waitcnt vmcnt(1)
	v_mul_f16_sdwa v67, v66, v92 dst_sel:DWORD dst_unused:UNUSED_PAD src0_sel:DWORD src1_sel:WORD_1
	v_fma_f16 v67, v64, v92, -v67
	v_mul_f16_sdwa v64, v64, v92 dst_sel:DWORD dst_unused:UNUSED_PAD src0_sel:DWORD src1_sel:WORD_1
	v_fma_f16 v64, v66, v92, v64
	v_lshrrev_b32_e32 v66, 16, v65
	v_pack_b32_f16 v64, v67, v64
	s_waitcnt vmcnt(0)
	v_mul_f16_sdwa v67, v66, v93 dst_sel:DWORD dst_unused:UNUSED_PAD src0_sel:DWORD src1_sel:WORD_1
	v_fma_f16 v67, v65, v93, -v67
	v_mul_f16_sdwa v65, v65, v93 dst_sel:DWORD dst_unused:UNUSED_PAD src0_sel:DWORD src1_sel:WORD_1
	v_fma_f16 v65, v66, v93, v65
	v_pack_b32_f16 v65, v67, v65
	ds_write2_b32 v63, v64, v65 offset0:74 offset1:96
.LBB0_13:
	s_or_b64 exec, exec, s[2:3]
	s_waitcnt lgkmcnt(0)
	s_barrier
	s_and_saveexec_b64 s[2:3], vcc
	s_cbranch_execz .LBB0_15
; %bb.14:
	v_add_u32_e32 v12, 0x200, v9
	ds_read_b32 v51, v9
	ds_read2_b32 v[20:21], v9 offset0:22 offset1:44
	ds_read2_b32 v[22:23], v9 offset0:66 offset1:88
	ds_read2_b32 v[16:17], v12 offset0:114 offset1:136
	v_add_u32_e32 v12, 0x400, v9
	ds_read2_b32 v[28:29], v9 offset0:110 offset1:132
	ds_read2_b32 v[26:27], v9 offset0:154 offset1:176
	;; [unrolled: 1-line block ×5, first 2 shown]
	s_waitcnt lgkmcnt(8)
	v_lshrrev_b32_e32 v52, 16, v51
	s_waitcnt lgkmcnt(7)
	v_lshrrev_b32_e32 v53, 16, v20
	v_lshrrev_b32_e32 v54, 16, v21
	s_waitcnt lgkmcnt(6)
	v_lshrrev_b32_e32 v55, 16, v22
	;; [unrolled: 3-line block ×5, first 2 shown]
	v_lshrrev_b32_e32 v57, 16, v25
	v_lshrrev_b32_e32 v50, 16, v16
	;; [unrolled: 1-line block ×3, first 2 shown]
	s_waitcnt lgkmcnt(1)
	v_lshrrev_b32_e32 v35, 16, v14
	v_lshrrev_b32_e32 v34, 16, v15
	s_waitcnt lgkmcnt(0)
	v_lshrrev_b32_e32 v33, 16, v12
	v_lshrrev_b32_e32 v32, 16, v13
.LBB0_15:
	s_or_b64 exec, exec, s[2:3]
	v_sub_f16_e32 v84, v53, v32
	v_add_f16_e32 v67, v13, v20
	v_add_f16_e32 v88, v32, v53
	s_mov_b32 s4, 0xb8d2
	v_mul_f16_e32 v103, 0xba62, v84
	v_sub_f16_e32 v86, v54, v33
	v_sub_f16_e32 v68, v20, v13
	s_mov_b32 s6, 0xba62
	v_mul_f16_e32 v104, 0xb8d2, v88
	v_fma_f16 v63, v67, s4, -v103
	v_add_f16_e32 v69, v12, v21
	v_add_f16_e32 v91, v33, v54
	s_mov_b32 s7, 0xb461
	v_mul_f16_e32 v105, 0x3bb2, v86
	v_add_f16_e32 v63, v51, v63
	v_fma_f16 v64, v68, s6, v104
	s_mov_b32 s5, 0xbacd
	v_mul_f16_e32 v108, 0xb836, v84
	v_sub_f16_e32 v70, v21, v12
	s_movk_i32 s21, 0x3bb2
	v_mul_f16_e32 v106, 0xb461, v91
	v_fma_f16 v71, v69, s7, -v105
	v_add_f16_e32 v64, v52, v64
	s_mov_b32 s16, 0xb836
	v_mul_f16_e32 v111, 0xbacd, v88
	v_fma_f16 v65, v67, s5, -v108
	v_add_f16_e32 v63, v71, v63
	v_fma_f16 v71, v70, s21, v106
	s_movk_i32 s17, 0x3722
	v_mul_f16_e32 v112, 0x3b29, v86
	v_add_f16_e32 v65, v51, v65
	v_fma_f16 v66, v68, s16, v111
	v_add_f16_e32 v64, v71, v64
	s_movk_i32 s23, 0x3b29
	v_mul_f16_e32 v115, 0x3722, v91
	v_fma_f16 v71, v69, s17, -v112
	v_add_f16_e32 v66, v52, v66
	v_add_f16_e32 v65, v71, v65
	v_fma_f16 v71, v70, s23, v115
	v_sub_f16_e32 v89, v55, v34
	v_add_f16_e32 v66, v71, v66
	v_add_f16_e32 v71, v15, v22
	;; [unrolled: 1-line block ×3, first 2 shown]
	s_movk_i32 s18, 0x3b76
	v_mul_f16_e32 v107, 0xb5c8, v89
	v_sub_f16_e32 v72, v22, v15
	s_mov_b32 s20, 0xb5c8
	v_mul_f16_e32 v110, 0x3b76, v93
	v_fma_f16 v73, v71, s18, -v107
	v_add_f16_e32 v63, v73, v63
	v_fma_f16 v73, v72, s20, v110
	s_movk_i32 s19, 0x2de8
	v_mul_f16_e32 v116, 0xbbf7, v89
	v_add_f16_e32 v64, v73, v64
	s_mov_b32 s22, 0xbbf7
	v_mul_f16_e32 v120, 0x2de8, v93
	v_fma_f16 v73, v71, s19, -v116
	v_add_f16_e32 v65, v73, v65
	v_fma_f16 v73, v72, s22, v120
	v_sub_f16_e32 v92, v58, v35
	v_add_f16_e32 v66, v73, v66
	v_add_f16_e32 v73, v14, v23
	;; [unrolled: 1-line block ×3, first 2 shown]
	v_mul_f16_e32 v109, 0xb836, v92
	v_sub_f16_e32 v75, v23, v14
	v_mul_f16_e32 v114, 0xbacd, v95
	v_fma_f16 v74, v73, s5, -v109
	v_add_f16_e32 v63, v74, v63
	v_fma_f16 v74, v75, s16, v114
	v_mul_f16_e32 v119, 0x3a62, v92
	v_add_f16_e32 v64, v74, v64
	s_movk_i32 s29, 0x3a62
	v_mul_f16_e32 v124, 0xb8d2, v95
	v_fma_f16 v74, v73, s4, -v119
	v_add_f16_e32 v65, v74, v65
	v_fma_f16 v74, v75, s29, v124
	v_sub_f16_e32 v94, v61, v36
	v_add_f16_e32 v66, v74, v66
	v_add_f16_e32 v74, v17, v28
	;; [unrolled: 1-line block ×3, first 2 shown]
	v_mul_f16_e32 v113, 0x3bf7, v94
	v_sub_f16_e32 v77, v28, v17
	s_movk_i32 s31, 0x3bf7
	v_mul_f16_e32 v118, 0x2de8, v97
	v_fma_f16 v76, v74, s19, -v113
	v_add_f16_e32 v63, v76, v63
	v_fma_f16 v76, v77, s31, v118
	v_mul_f16_e32 v123, 0xb5c8, v94
	v_add_f16_e32 v64, v76, v64
	v_mul_f16_e32 v127, 0x3b76, v97
	v_fma_f16 v76, v74, s18, -v123
	v_add_f16_e32 v65, v76, v65
	v_fma_f16 v76, v77, s20, v127
	v_sub_f16_e32 v96, v62, v50
	v_add_f16_e32 v66, v76, v66
	v_add_f16_e32 v76, v16, v29
	;; [unrolled: 1-line block ×3, first 2 shown]
	s_movk_i32 s25, 0x39e9
	v_mul_f16_e32 v117, 0xb964, v96
	v_sub_f16_e32 v78, v29, v16
	s_mov_b32 s27, 0xb964
	v_mul_f16_e32 v122, 0x39e9, v99
	v_fma_f16 v79, v76, s25, -v117
	v_add_f16_e32 v63, v79, v63
	v_fma_f16 v79, v78, s27, v122
	s_mov_b32 s24, 0xbbdd
	v_mul_f16_e32 v128, 0xb1e1, v96
	v_add_f16_e32 v64, v79, v64
	s_mov_b32 s26, 0xb1e1
	v_mul_f16_e32 v131, 0xbbdd, v99
	v_fma_f16 v79, v76, s24, -v128
	v_add_f16_e32 v65, v79, v65
	v_fma_f16 v79, v78, s26, v131
	v_sub_f16_e32 v98, v60, v57
	v_add_f16_e32 v66, v79, v66
	v_add_f16_e32 v79, v25, v26
	;; [unrolled: 1-line block ×3, first 2 shown]
	v_mul_f16_e32 v121, 0xb1e1, v98
	v_sub_f16_e32 v81, v26, v25
	v_mul_f16_e32 v126, 0xbbdd, v101
	v_fma_f16 v80, v79, s24, -v121
	v_add_f16_e32 v63, v80, v63
	v_fma_f16 v80, v81, s26, v126
	v_mul_f16_e32 v130, 0x3964, v98
	v_add_f16_e32 v64, v80, v64
	s_movk_i32 s30, 0x3964
	v_mul_f16_e32 v133, 0x39e9, v101
	v_fma_f16 v80, v79, s25, -v130
	v_add_f16_e32 v65, v80, v65
	v_fma_f16 v80, v81, s30, v133
	v_sub_f16_e32 v100, v59, v56
	v_add_f16_e32 v66, v80, v66
	v_add_f16_e32 v80, v24, v27
	;; [unrolled: 1-line block ×3, first 2 shown]
	v_mul_f16_e32 v125, 0x3b29, v100
	v_sub_f16_e32 v82, v27, v24
	v_mul_f16_e32 v129, 0x3722, v102
	v_fma_f16 v83, v80, s17, -v125
	v_add_f16_e32 v63, v83, v63
	v_fma_f16 v83, v82, s23, v129
	v_mul_f16_e32 v132, 0xbbb2, v100
	v_add_f16_e32 v64, v83, v64
	s_mov_b32 s28, 0xbbb2
	v_mul_f16_e32 v134, 0xb461, v102
	v_fma_f16 v83, v80, s7, -v132
	v_add_f16_e32 v65, v83, v65
	v_fma_f16 v83, v82, s28, v134
	v_add_f16_e32 v66, v83, v66
	s_barrier
	s_and_saveexec_b64 s[2:3], vcc
	s_cbranch_execz .LBB0_17
; %bb.16:
	v_mul_f16_e32 v135, 0xb8d2, v67
	v_mul_f16_e32 v136, 0xba62, v68
	;; [unrolled: 1-line block ×3, first 2 shown]
	v_add_f16_e32 v103, v135, v103
	v_mul_f16_e32 v140, 0x3bb2, v70
	v_mul_f16_e32 v143, 0x3b76, v71
	v_sub_f16_e32 v104, v104, v136
	v_add_f16_e32 v103, v51, v103
	v_add_f16_e32 v105, v139, v105
	v_mul_f16_e32 v144, 0xb5c8, v72
	v_mul_f16_e32 v147, 0xbacd, v73
	v_add_f16_e32 v104, v52, v104
	v_sub_f16_e32 v106, v106, v140
	v_add_f16_e32 v103, v105, v103
	v_add_f16_e32 v105, v143, v107
	v_mul_f16_e32 v148, 0xb836, v75
	v_mul_f16_e32 v151, 0x2de8, v74
	v_add_f16_e32 v104, v106, v104
	v_sub_f16_e32 v106, v110, v144
	v_add_f16_e32 v103, v105, v103
	v_add_f16_e32 v105, v147, v109
	v_mul_f16_e32 v152, 0x3bf7, v77
	v_mul_f16_e32 v155, 0x39e9, v76
	v_add_f16_e32 v104, v106, v104
	v_sub_f16_e32 v106, v114, v148
	v_add_f16_e32 v103, v105, v103
	v_add_f16_e32 v105, v151, v113
	v_mul_f16_e32 v137, 0xbacd, v67
	v_mul_f16_e32 v156, 0xb964, v78
	;; [unrolled: 1-line block ×3, first 2 shown]
	v_add_f16_e32 v104, v106, v104
	v_sub_f16_e32 v106, v118, v152
	v_add_f16_e32 v103, v105, v103
	v_add_f16_e32 v105, v155, v117
	v_mul_f16_e32 v141, 0x3722, v69
	v_mul_f16_e32 v160, 0xb1e1, v81
	v_mul_f16_e32 v163, 0x3722, v80
	v_add_f16_e32 v108, v137, v108
	v_add_f16_e32 v104, v106, v104
	v_sub_f16_e32 v106, v122, v156
	v_add_f16_e32 v103, v105, v103
	v_add_f16_e32 v105, v159, v121
	v_mul_f16_e32 v145, 0x2de8, v71
	v_mul_f16_e32 v164, 0x3b29, v82
	v_add_f16_e32 v108, v51, v108
	v_add_f16_e32 v112, v141, v112
	;; [unrolled: 1-line block ×3, first 2 shown]
	v_sub_f16_e32 v106, v126, v160
	v_add_f16_e32 v103, v105, v103
	v_add_f16_e32 v105, v163, v125
	v_mul_f16_e32 v149, 0xb8d2, v73
	v_add_f16_e32 v108, v112, v108
	v_add_f16_e32 v112, v145, v116
	;; [unrolled: 1-line block ×3, first 2 shown]
	v_sub_f16_e32 v106, v129, v164
	v_add_f16_e32 v103, v105, v103
	v_mul_f16_e32 v105, 0xb461, v88
	v_mul_f16_e32 v153, 0x3b76, v74
	v_add_f16_e32 v108, v112, v108
	v_add_f16_e32 v112, v149, v119
	;; [unrolled: 1-line block ×3, first 2 shown]
	v_fma_f16 v106, v68, s21, v105
	v_mul_f16_e32 v107, 0xbacd, v91
	v_mul_f16_e32 v157, 0xbbdd, v76
	v_add_f16_e32 v108, v112, v108
	v_add_f16_e32 v112, v153, v123
	;; [unrolled: 1-line block ×3, first 2 shown]
	v_fma_f16 v109, v70, s16, v107
	v_mul_f16_e32 v138, 0xb836, v68
	v_mul_f16_e32 v161, 0x39e9, v79
	v_add_f16_e32 v108, v112, v108
	v_add_f16_e32 v112, v157, v128
	;; [unrolled: 1-line block ×3, first 2 shown]
	v_mul_f16_e32 v109, 0x39e9, v93
	v_mul_f16_e32 v142, 0x3b29, v70
	;; [unrolled: 1-line block ×3, first 2 shown]
	v_sub_f16_e32 v111, v111, v138
	v_add_f16_e32 v108, v112, v108
	v_add_f16_e32 v112, v161, v130
	v_fma_f16 v110, v72, s27, v109
	v_mul_f16_e32 v146, 0xbbf7, v72
	v_add_f16_e32 v111, v52, v111
	v_sub_f16_e32 v115, v115, v142
	v_add_f16_e32 v108, v112, v108
	v_add_f16_e32 v112, v165, v132
	;; [unrolled: 1-line block ×3, first 2 shown]
	v_mul_f16_e32 v110, 0x3722, v95
	v_mul_f16_e32 v150, 0x3a62, v75
	v_add_f16_e32 v111, v115, v111
	v_sub_f16_e32 v115, v120, v146
	v_add_f16_e32 v108, v112, v108
	v_fma_f16 v112, v75, s23, v110
	v_mul_f16_e32 v154, 0xb5c8, v77
	v_add_f16_e32 v111, v115, v111
	v_sub_f16_e32 v115, v124, v150
	v_add_f16_e32 v106, v112, v106
	v_mul_f16_e32 v112, 0xbbdd, v97
	s_movk_i32 s36, 0x31e1
	v_mul_f16_e32 v158, 0xb1e1, v78
	v_add_f16_e32 v111, v115, v111
	v_sub_f16_e32 v115, v127, v154
	v_fma_f16 v113, v77, s36, v112
	v_mul_f16_e32 v162, 0x3964, v81
	v_add_f16_e32 v111, v115, v111
	v_sub_f16_e32 v115, v131, v158
	v_add_f16_e32 v106, v113, v106
	v_mul_f16_e32 v113, 0x2de8, v99
	v_mul_f16_e32 v166, 0xbbb2, v82
	v_add_f16_e32 v111, v115, v111
	v_sub_f16_e32 v115, v133, v162
	v_fma_f16 v114, v78, s22, v113
	s_movk_i32 s33, 0x35c8
	v_add_f16_e32 v111, v115, v111
	v_sub_f16_e32 v115, v134, v166
	v_add_f16_e32 v106, v114, v106
	v_mul_f16_e32 v114, 0x3b76, v101
	v_add_f16_e32 v111, v115, v111
	v_fma_f16 v115, v81, s33, v114
	v_add_f16_e32 v106, v115, v106
	v_mul_f16_e32 v115, 0xb8d2, v102
	v_fma_f16 v116, v82, s29, v115
	v_add_f16_e32 v106, v116, v106
	v_mul_f16_e32 v116, 0xbbb2, v84
	v_fma_f16 v117, v67, s7, v116
	v_mul_f16_e32 v118, 0x3836, v86
	v_add_f16_e32 v117, v51, v117
	v_fma_f16 v119, v69, s5, v118
	v_add_f16_e32 v117, v119, v117
	v_mul_f16_e32 v119, 0x3964, v89
	v_fma_f16 v120, v71, s25, v119
	v_add_f16_e32 v117, v120, v117
	v_mul_f16_e32 v120, 0xbb29, v92
	;; [unrolled: 3-line block ×7, first 2 shown]
	v_fma_f16 v126, v68, s31, v125
	v_mul_f16_e32 v127, 0xbbdd, v91
	v_add_f16_e32 v126, v52, v126
	v_fma_f16 v128, v70, s36, v127
	v_add_f16_e32 v126, v128, v126
	v_mul_f16_e32 v128, 0xb461, v93
	v_fma_f16 v129, v72, s28, v128
	v_add_f16_e32 v126, v129, v126
	v_mul_f16_e32 v129, 0x3b76, v95
	;; [unrolled: 3-line block ×3, first 2 shown]
	v_fma_f16 v131, v77, s23, v130
	s_movk_i32 s35, 0x3836
	v_add_f16_e32 v126, v131, v126
	v_mul_f16_e32 v131, 0xbacd, v99
	v_fma_f16 v132, v78, s35, v131
	v_add_f16_e32 v126, v132, v126
	v_mul_f16_e32 v132, 0xb8d2, v101
	v_fma_f16 v133, v81, s6, v132
	v_add_f16_e32 v126, v133, v126
	v_mul_f16_e32 v133, 0x39e9, v102
	v_add_f16_e32 v20, v20, v51
	v_fma_f16 v134, v82, s27, v133
	v_add_f16_e32 v20, v21, v20
	v_add_f16_e32 v126, v134, v126
	v_mul_f16_e32 v134, 0xbbf7, v84
	v_add_f16_e32 v20, v22, v20
	v_fma_f16 v135, v67, s19, v134
	v_mul_f16_e32 v136, 0xb1e1, v86
	v_add_f16_e32 v20, v23, v20
	v_add_f16_e32 v135, v51, v135
	v_fma_f16 v137, v69, s24, v136
	v_add_f16_e32 v20, v28, v20
	v_add_f16_e32 v135, v137, v135
	v_mul_f16_e32 v137, 0x3bb2, v89
	v_add_f16_e32 v20, v29, v20
	v_fma_f16 v138, v71, s7, v137
	v_add_f16_e32 v20, v26, v20
	v_add_f16_e32 v135, v138, v135
	v_mul_f16_e32 v138, 0x35c8, v92
	;; [unrolled: 5-line block ×5, first 2 shown]
	v_add_f16_e32 v14, v15, v14
	v_fma_f16 v142, v79, s4, v141
	v_add_f16_e32 v12, v12, v14
	v_fma_f16 v14, v68, s28, v105
	v_add_f16_e32 v135, v142, v135
	v_mul_f16_e32 v142, 0x3964, v100
	v_add_f16_e32 v14, v52, v14
	v_fma_f16 v15, v70, s35, v107
	s_mov_b32 s34, 0xbb29
	v_fma_f16 v143, v80, s25, v142
	v_add_f16_e32 v14, v15, v14
	v_fma_f16 v15, v72, s30, v109
	v_add_f16_e32 v135, v143, v135
	v_mul_f16_e32 v143, 0x3722, v88
	v_add_f16_e32 v14, v15, v14
	v_fma_f16 v15, v75, s34, v110
	v_fma_f16 v144, v68, s23, v143
	v_mul_f16_e32 v145, 0xb8d2, v91
	v_add_f16_e32 v14, v15, v14
	v_fma_f16 v15, v77, s26, v112
	v_add_f16_e32 v144, v52, v144
	v_fma_f16 v146, v70, s29, v145
	;; [unrolled: 2-line block ×3, first 2 shown]
	v_add_f16_e32 v144, v146, v144
	v_mul_f16_e32 v146, 0xbbdd, v93
	v_add_f16_e32 v14, v15, v14
	v_fma_f16 v15, v81, s20, v114
	v_fma_f16 v147, v72, s26, v146
	v_add_f16_e32 v14, v15, v14
	v_fma_f16 v15, v82, s6, v115
	v_add_f16_e32 v144, v147, v144
	v_mul_f16_e32 v147, 0xb461, v95
	v_add_f16_e32 v14, v15, v14
	v_fma_f16 v15, v67, s7, -v116
	v_fma_f16 v148, v75, s28, v147
	v_add_f16_e32 v15, v51, v15
	v_fma_f16 v16, v69, s5, -v118
	v_add_f16_e32 v144, v148, v144
	v_mul_f16_e32 v148, 0x39e9, v97
	v_add_f16_e32 v15, v16, v15
	v_fma_f16 v16, v71, s25, -v119
	v_fma_f16 v149, v77, s27, v148
	v_add_f16_e32 v15, v16, v15
	v_fma_f16 v16, v73, s17, -v120
	;; [unrolled: 7-line block ×4, first 2 shown]
	v_add_f16_e32 v144, v151, v144
	v_mul_f16_e32 v151, 0xbacd, v102
	v_add_f16_e32 v15, v16, v15
	v_fma_f16 v16, v68, s22, v125
	v_fma_f16 v152, v82, s35, v151
	v_add_f16_e32 v16, v52, v16
	v_fma_f16 v17, v70, s26, v127
	v_mul_f16_e32 v87, 0xb1e1, v68
	v_add_f16_e32 v144, v152, v144
	v_mul_f16_e32 v152, 0xbb29, v84
	v_add_f16_e32 v16, v17, v16
	v_fma_f16 v17, v72, s21, v128
	v_fma_f16 v83, v88, s24, v87
	v_mul_f16_e32 v90, 0x35c8, v70
	v_fma_f16 v153, v67, s17, v152
	v_mul_f16_e32 v154, 0xba62, v86
	v_add_f16_e32 v16, v17, v16
	v_fma_f16 v17, v75, s33, v129
	v_add_f16_e32 v83, v52, v83
	v_fma_f16 v85, v91, s18, v90
	v_mul_f16_e32 v167, 0xb836, v72
	v_add_f16_e32 v153, v51, v153
	v_fma_f16 v155, v69, s4, v154
	v_add_f16_e32 v16, v17, v16
	v_fma_f16 v17, v77, s34, v130
	;; [unrolled: 2-line block ×3, first 2 shown]
	v_mul_f16_e32 v168, 0x3964, v75
	v_add_f16_e32 v153, v155, v153
	v_mul_f16_e32 v155, 0x31e1, v89
	v_add_f16_e32 v16, v17, v16
	v_fma_f16 v17, v78, s16, v131
	v_add_f16_e32 v83, v85, v83
	v_fma_f16 v85, v95, s25, v168
	v_mul_f16_e32 v169, 0xba62, v77
	v_fma_f16 v156, v71, s24, v155
	v_add_f16_e32 v16, v17, v16
	v_fma_f16 v17, v81, s29, v132
	v_add_f16_e32 v83, v85, v83
	v_fma_f16 v85, v97, s4, v169
	v_mul_f16_e32 v170, 0x3b29, v78
	v_add_f16_e32 v153, v156, v153
	v_mul_f16_e32 v156, 0x3bb2, v92
	v_add_f16_e32 v16, v17, v16
	v_fma_f16 v17, v82, s30, v133
	v_add_f16_e32 v83, v85, v83
	v_fma_f16 v85, v99, s17, v170
	v_mul_f16_e32 v171, 0xbbb2, v81
	v_fma_f16 v157, v73, s7, v156
	v_add_f16_e32 v16, v17, v16
	v_fma_f16 v17, v67, s19, -v134
	v_add_f16_e32 v83, v85, v83
	v_fma_f16 v85, v101, s7, v171
	v_mul_f16_e32 v172, 0x3bf7, v82
	v_fma_f16 v87, v88, s24, -v87
	v_add_f16_e32 v153, v157, v153
	v_mul_f16_e32 v157, 0x3964, v94
	v_add_f16_e32 v17, v51, v17
	v_fma_f16 v20, v69, s24, -v136
	v_add_f16_e32 v83, v85, v83
	v_fma_f16 v85, v102, s19, v172
	v_mul_f16_e32 v173, 0xb1e1, v84
	v_add_f16_e32 v87, v52, v87
	v_fma_f16 v90, v91, s18, -v90
	v_fma_f16 v158, v74, s25, v157
	v_add_f16_e32 v17, v20, v17
	v_fma_f16 v20, v71, s7, -v137
	v_add_f16_e32 v83, v85, v83
	v_fma_f16 v85, v67, s24, -v173
	v_mul_f16_e32 v174, 0x35c8, v86
	v_add_f16_e32 v87, v90, v87
	v_fma_f16 v90, v93, s5, -v167
	v_add_f16_e32 v153, v158, v153
	v_mul_f16_e32 v158, 0xb5c8, v96
	v_add_f16_e32 v17, v20, v17
	v_fma_f16 v20, v73, s18, -v138
	v_add_f16_e32 v85, v51, v85
	v_fma_f16 v175, v69, s18, -v174
	;; [unrolled: 2-line block ×3, first 2 shown]
	v_fma_f16 v159, v76, s18, v158
	v_add_f16_e32 v17, v20, v17
	v_fma_f16 v20, v74, s17, -v139
	v_add_f16_e32 v85, v175, v85
	v_mul_f16_e32 v175, 0xb836, v89
	v_add_f16_e32 v87, v90, v87
	v_fma_f16 v90, v97, s4, -v169
	v_add_f16_e32 v153, v159, v153
	v_mul_f16_e32 v159, 0xbbf7, v98
	v_add_f16_e32 v17, v20, v17
	v_fma_f16 v20, v76, s5, -v140
	v_fma_f16 v176, v71, s5, -v175
	v_add_f16_e32 v87, v90, v87
	v_fma_f16 v90, v99, s17, -v170
	v_fma_f16 v160, v79, s19, v159
	v_add_f16_e32 v17, v20, v17
	v_fma_f16 v20, v79, s4, -v141
	v_add_f16_e32 v85, v176, v85
	v_mul_f16_e32 v176, 0x3964, v92
	v_add_f16_e32 v87, v90, v87
	v_fma_f16 v90, v101, s7, -v171
	v_add_f16_e32 v153, v160, v153
	v_mul_f16_e32 v160, 0xb836, v100
	v_add_f16_e32 v17, v20, v17
	v_fma_f16 v20, v80, s25, -v142
	v_fma_f16 v177, v73, s25, -v176
	v_add_f16_e32 v87, v90, v87
	v_fma_f16 v90, v102, s19, -v172
	v_fma_f16 v161, v80, s5, v160
	v_add_f16_e32 v17, v20, v17
	v_fma_f16 v20, v68, s34, v143
	v_add_f16_e32 v85, v177, v85
	v_mul_f16_e32 v177, 0xba62, v94
	v_add_f16_e32 v87, v90, v87
	v_fma_f16 v90, v67, s24, v173
	v_add_f16_e32 v153, v161, v153
	v_mul_f16_e32 v161, 0x39e9, v88
	v_add_f16_e32 v20, v52, v20
	v_fma_f16 v21, v70, s6, v145
	v_fma_f16 v178, v74, s4, -v177
	v_add_f16_e32 v90, v51, v90
	v_fma_f16 v167, v69, s18, v174
	v_fma_f16 v162, v68, s30, v161
	v_mul_f16_e32 v163, 0x2de8, v91
	v_add_f16_e32 v20, v21, v20
	v_fma_f16 v21, v72, s36, v146
	v_add_f16_e32 v85, v178, v85
	v_mul_f16_e32 v178, 0x3b29, v96
	v_add_f16_e32 v90, v167, v90
	v_fma_f16 v167, v71, s5, v175
	v_add_f16_e32 v162, v52, v162
	v_fma_f16 v164, v70, s31, v163
	v_add_f16_e32 v20, v21, v20
	v_fma_f16 v21, v75, s21, v147
	v_fma_f16 v179, v76, s17, -v178
	v_add_f16_e32 v90, v167, v90
	v_fma_f16 v167, v73, s25, v176
	v_add_f16_e32 v162, v164, v162
	v_mul_f16_e32 v164, 0xb8d2, v93
	v_add_f16_e32 v20, v21, v20
	v_fma_f16 v21, v77, s30, v148
	v_add_f16_e32 v85, v179, v85
	v_mul_f16_e32 v179, 0xbbb2, v98
	v_add_f16_e32 v90, v167, v90
	v_fma_f16 v167, v74, s4, v177
	v_fma_f16 v165, v72, s29, v164
	v_add_f16_e32 v20, v21, v20
	v_fma_f16 v21, v78, s20, v149
	v_fma_f16 v180, v79, s7, -v179
	v_add_f16_e32 v90, v167, v90
	v_fma_f16 v167, v76, s17, v178
	v_add_f16_e32 v162, v165, v162
	v_mul_f16_e32 v165, 0xbbdd, v95
	v_add_f16_e32 v20, v21, v20
	v_fma_f16 v21, v81, s22, v150
	v_add_f16_e32 v85, v180, v85
	v_mul_f16_e32 v180, 0x3bf7, v100
	v_add_f16_e32 v90, v167, v90
	v_fma_f16 v167, v79, s7, v179
	v_fma_f16 v166, v75, s36, v165
	v_add_f16_e32 v20, v21, v20
	v_fma_f16 v21, v82, s16, v151
	v_add_f16_e32 v90, v167, v90
	;; [unrolled: 2-line block ×3, first 2 shown]
	v_mul_f16_e32 v166, 0xbacd, v97
	v_add_f16_e32 v20, v21, v20
	v_fma_f16 v21, v67, s17, -v152
	v_add_f16_e32 v90, v167, v90
	v_fma_f16 v167, v77, s16, v166
	v_add_f16_e32 v21, v51, v21
	v_fma_f16 v22, v69, s4, -v154
	v_add_f16_e32 v162, v167, v162
	v_mul_f16_e32 v167, 0xb461, v99
	v_add_f16_e32 v21, v22, v21
	v_fma_f16 v22, v71, s24, -v155
	v_fma_f16 v168, v78, s28, v167
	v_add_f16_e32 v21, v22, v21
	v_fma_f16 v22, v73, s7, -v156
	v_add_f16_e32 v162, v168, v162
	v_mul_f16_e32 v168, 0x3722, v101
	v_add_f16_e32 v21, v22, v21
	v_fma_f16 v22, v74, s25, -v157
	;; [unrolled: 7-line block ×3, first 2 shown]
	v_fma_f16 v170, v82, s20, v169
	v_add_f16_e32 v21, v22, v21
	v_fma_f16 v22, v80, s5, -v160
	v_add_f16_e32 v162, v170, v162
	v_mul_f16_e32 v170, 0xb964, v84
	v_add_f16_e32 v21, v22, v21
	v_fma_f16 v22, v68, s27, v161
	v_fma_f16 v171, v67, s25, v170
	v_mul_f16_e32 v172, 0xbbf7, v86
	v_add_f16_e32 v22, v52, v22
	v_fma_f16 v23, v70, s22, v163
	v_add_f16_e32 v171, v51, v171
	v_fma_f16 v173, v69, s19, v172
	;; [unrolled: 2-line block ×3, first 2 shown]
	v_add_f16_e32 v171, v173, v171
	v_mul_f16_e32 v173, 0xba62, v89
	v_add_f16_e32 v22, v23, v22
	v_fma_f16 v23, v75, s26, v165
	v_fma_f16 v174, v71, s4, v173
	v_add_f16_e32 v22, v23, v22
	v_fma_f16 v23, v77, s35, v166
	v_add_f16_e32 v171, v174, v171
	v_mul_f16_e32 v174, 0xb1e1, v92
	v_add_f16_e32 v22, v23, v22
	v_fma_f16 v23, v78, s21, v167
	v_fma_f16 v175, v73, s24, v174
	v_add_f16_e32 v22, v23, v22
	v_fma_f16 v23, v81, s23, v168
	v_add_f16_e32 v171, v175, v171
	v_mul_f16_e32 v175, 0x3836, v94
	v_add_f16_e32 v22, v23, v22
	v_fma_f16 v23, v82, s33, v169
	v_fma_f16 v176, v74, s5, v175
	v_add_f16_e32 v22, v23, v22
	v_fma_f16 v23, v67, s25, -v170
	v_add_f16_e32 v171, v176, v171
	v_mul_f16_e32 v176, 0x3bb2, v96
	v_add_f16_e32 v23, v51, v23
	v_fma_f16 v24, v69, s19, -v172
	v_fma_f16 v177, v76, s7, v176
	v_add_f16_e32 v23, v24, v23
	v_fma_f16 v24, v71, s4, -v173
	v_add_f16_e32 v171, v177, v171
	v_mul_f16_e32 v177, 0x3b29, v98
	v_add_f16_e32 v23, v24, v23
	v_fma_f16 v24, v73, s24, -v174
	v_fma_f16 v178, v79, s17, v177
	v_add_f16_e32 v23, v24, v23
	v_fma_f16 v24, v74, s5, -v175
	v_add_f16_e32 v171, v178, v171
	v_mul_f16_e32 v178, 0x35c8, v100
	v_add_f16_e32 v23, v24, v23
	v_fma_f16 v24, v76, s7, -v176
	v_fma_f16 v179, v80, s18, v178
	v_mul_f16_e32 v88, 0x3b76, v88
	v_add_f16_e32 v23, v24, v23
	v_fma_f16 v24, v79, s17, -v177
	v_add_f16_e32 v171, v179, v171
	v_fma_f16 v179, v68, s33, v88
	v_mul_f16_e32 v91, 0x39e9, v91
	v_add_f16_e32 v23, v24, v23
	v_fma_f16 v24, v80, s18, -v178
	v_fma_f16 v181, v80, s19, -v180
	v_add_f16_e32 v179, v52, v179
	v_fma_f16 v180, v70, s30, v91
	v_mul_f16_e32 v93, 0x3722, v93
	v_add_f16_e32 v12, v13, v12
	v_add_f16_e32 v13, v53, v52
	;; [unrolled: 1-line block ×3, first 2 shown]
	v_fma_f16 v24, v68, s20, v88
	v_add_f16_e32 v179, v180, v179
	v_fma_f16 v180, v72, s23, v93
	v_mul_f16_e32 v95, 0x2de8, v95
	v_add_f16_e32 v13, v54, v13
	v_add_f16_e32 v24, v52, v24
	v_fma_f16 v25, v70, s27, v91
	v_add_f16_e32 v179, v180, v179
	v_fma_f16 v180, v75, s31, v95
	v_mul_f16_e32 v97, 0xb461, v97
	v_add_f16_e32 v13, v55, v13
	v_add_f16_e32 v24, v25, v24
	;; [unrolled: 6-line block ×7, first 2 shown]
	v_fma_f16 v25, v82, s26, v102
	v_add_f16_e32 v85, v181, v85
	v_add_f16_e32 v180, v51, v180
	v_fma_f16 v181, v69, s25, v86
	v_mul_f16_e32 v89, 0xbb29, v89
	v_add_f16_e32 v13, v56, v13
	v_add_f16_e32 v24, v25, v24
	v_fma_f16 v25, v67, s18, -v84
	v_add_f16_e32 v180, v181, v180
	v_fma_f16 v181, v71, s17, v89
	v_mul_f16_e32 v92, 0xbbf7, v92
	v_add_f16_e32 v13, v57, v13
	v_add_f16_e32 v25, v51, v25
	v_fma_f16 v26, v69, s25, -v86
	;; [unrolled: 6-line block ×6, first 2 shown]
	v_add_f16_e32 v180, v181, v180
	v_fma_f16 v181, v80, s24, v100
	v_add_f16_e32 v13, v33, v13
	v_add_f16_e32 v25, v26, v25
	v_fma_f16 v26, v79, s5, -v98
	v_add_f16_e32 v180, v181, v180
	v_add_f16_e32 v13, v32, v13
	;; [unrolled: 1-line block ×3, first 2 shown]
	v_fma_f16 v26, v80, s24, -v100
	v_add_f16_e32 v25, v26, v25
	v_lshl_add_u32 v26, v31, 2, v30
	v_pack_b32_f16 v27, v180, v179
	v_pack_b32_f16 v12, v12, v13
	ds_write2_b32 v26, v12, v27 offset1:1
	v_pack_b32_f16 v12, v153, v144
	v_pack_b32_f16 v13, v171, v162
	ds_write2_b32 v26, v13, v12 offset0:2 offset1:3
	v_pack_b32_f16 v12, v117, v106
	v_pack_b32_f16 v13, v135, v126
	ds_write2_b32 v26, v13, v12 offset0:4 offset1:5
	;; [unrolled: 3-line block ×3, first 2 shown]
	v_pack_b32_f16 v12, v85, v83
	v_pack_b32_f16 v13, v90, v87
	s_mov_b32 s4, 0x5040100
	ds_write2_b32 v26, v13, v12 offset0:8 offset1:9
	v_perm_b32 v12, v64, v63, s4
	v_perm_b32 v13, v66, v65, s4
	ds_write2_b32 v26, v13, v12 offset0:10 offset1:11
	v_pack_b32_f16 v12, v17, v16
	v_pack_b32_f16 v13, v15, v14
	ds_write2_b32 v26, v13, v12 offset0:12 offset1:13
	v_pack_b32_f16 v12, v23, v22
	v_pack_b32_f16 v13, v21, v20
	ds_write2_b32 v26, v13, v12 offset0:14 offset1:15
	v_pack_b32_f16 v12, v25, v24
	ds_write_b32 v26, v12 offset:64
.LBB0_17:
	s_or_b64 exec, exec, s[2:3]
	s_waitcnt lgkmcnt(0)
	s_barrier
	ds_read2_b32 v[16:17], v37 offset1:34
	ds_read2_b32 v[12:13], v37 offset0:136 offset1:187
	ds_read2_b32 v[22:23], v37 offset0:221 offset1:255
	;; [unrolled: 1-line block ×3, first 2 shown]
	v_add_u32_e32 v20, 0x400, v37
	ds_read2_b32 v[20:21], v20 offset0:33 offset1:67
	s_and_saveexec_b64 s[2:3], s[0:1]
	s_cbranch_execz .LBB0_19
; %bb.18:
	ds_read_b32 v65, v37 offset:680
	ds_read_b32 v63, v37 offset:1428
	s_waitcnt lgkmcnt(1)
	v_lshrrev_b32_e32 v66, 16, v65
	s_waitcnt lgkmcnt(0)
	v_lshrrev_b32_e32 v64, 16, v63
.LBB0_19:
	s_or_b64 exec, exec, s[2:3]
	s_waitcnt lgkmcnt(3)
	v_lshrrev_b32_e32 v25, 16, v13
	v_mul_f16_sdwa v35, v41, v25 dst_sel:DWORD dst_unused:UNUSED_PAD src0_sel:WORD_1 src1_sel:DWORD
	s_waitcnt lgkmcnt(2)
	v_lshrrev_b32_e32 v27, 16, v22
	v_fma_f16 v35, v41, v13, v35
	v_mul_f16_sdwa v13, v41, v13 dst_sel:DWORD dst_unused:UNUSED_PAD src0_sel:WORD_1 src1_sel:DWORD
	v_fma_f16 v13, v41, v25, -v13
	v_mul_f16_sdwa v25, v44, v27 dst_sel:DWORD dst_unused:UNUSED_PAD src0_sel:WORD_1 src1_sel:DWORD
	v_lshrrev_b32_e32 v29, 16, v23
	v_fma_f16 v25, v44, v22, v25
	v_mul_f16_sdwa v22, v44, v22 dst_sel:DWORD dst_unused:UNUSED_PAD src0_sel:WORD_1 src1_sel:DWORD
	v_fma_f16 v22, v44, v27, -v22
	v_mul_f16_sdwa v27, v43, v29 dst_sel:DWORD dst_unused:UNUSED_PAD src0_sel:WORD_1 src1_sel:DWORD
	s_waitcnt lgkmcnt(0)
	v_lshrrev_b32_e32 v32, 16, v20
	v_fma_f16 v27, v43, v23, v27
	v_mul_f16_sdwa v23, v43, v23 dst_sel:DWORD dst_unused:UNUSED_PAD src0_sel:WORD_1 src1_sel:DWORD
	v_fma_f16 v23, v43, v29, -v23
	v_mul_f16_sdwa v29, v42, v32 dst_sel:DWORD dst_unused:UNUSED_PAD src0_sel:WORD_1 src1_sel:DWORD
	v_lshrrev_b32_e32 v34, 16, v21
	v_fma_f16 v29, v42, v20, v29
	v_mul_f16_sdwa v20, v42, v20 dst_sel:DWORD dst_unused:UNUSED_PAD src0_sel:WORD_1 src1_sel:DWORD
	v_fma_f16 v20, v42, v32, -v20
	v_mul_f16_sdwa v32, v40, v34 dst_sel:DWORD dst_unused:UNUSED_PAD src0_sel:WORD_1 src1_sel:DWORD
	v_lshrrev_b32_e32 v24, 16, v16
	v_fma_f16 v32, v40, v21, v32
	v_mul_f16_sdwa v21, v40, v21 dst_sel:DWORD dst_unused:UNUSED_PAD src0_sel:WORD_1 src1_sel:DWORD
	v_lshrrev_b32_e32 v26, 16, v17
	v_fma_f16 v21, v40, v34, -v21
	v_sub_f16_e32 v34, v16, v35
	v_sub_f16_e32 v13, v24, v13
	v_lshrrev_b32_e32 v28, 16, v14
	v_fma_f16 v16, v16, 2.0, -v34
	v_fma_f16 v24, v24, 2.0, -v13
	v_sub_f16_e32 v25, v17, v25
	v_sub_f16_e32 v22, v26, v22
	v_lshrrev_b32_e32 v31, 16, v15
	v_fma_f16 v17, v17, 2.0, -v25
	v_fma_f16 v26, v26, 2.0, -v22
	v_sub_f16_e32 v27, v14, v27
	v_sub_f16_e32 v23, v28, v23
	v_pack_b32_f16 v16, v16, v24
	v_pack_b32_f16 v13, v34, v13
	v_lshrrev_b32_e32 v33, 16, v12
	v_fma_f16 v14, v14, 2.0, -v27
	v_fma_f16 v28, v28, 2.0, -v23
	v_sub_f16_e32 v29, v15, v29
	v_sub_f16_e32 v20, v31, v20
	s_barrier
	ds_write2_b32 v45, v16, v13 offset1:17
	v_pack_b32_f16 v13, v17, v26
	v_pack_b32_f16 v16, v25, v22
	v_fma_f16 v15, v15, 2.0, -v29
	v_fma_f16 v31, v31, 2.0, -v20
	v_sub_f16_e32 v32, v12, v32
	v_sub_f16_e32 v21, v33, v21
	ds_write2_b32 v46, v13, v16 offset1:17
	v_pack_b32_f16 v13, v14, v28
	v_pack_b32_f16 v14, v27, v23
	v_fma_f16 v12, v12, 2.0, -v32
	v_fma_f16 v33, v33, 2.0, -v21
	ds_write2_b32 v47, v13, v14 offset1:17
	v_pack_b32_f16 v13, v15, v31
	v_pack_b32_f16 v14, v29, v20
	ds_write2_b32 v48, v13, v14 offset1:17
	v_pack_b32_f16 v12, v12, v33
	v_pack_b32_f16 v13, v32, v21
	ds_write2_b32 v49, v12, v13 offset1:17
	s_and_saveexec_b64 s[2:3], s[0:1]
	s_cbranch_execz .LBB0_21
; %bb.20:
	v_mul_f16_sdwa v12, v39, v64 dst_sel:DWORD dst_unused:UNUSED_PAD src0_sel:WORD_1 src1_sel:DWORD
	v_mul_f16_sdwa v14, v39, v63 dst_sel:DWORD dst_unused:UNUSED_PAD src0_sel:WORD_1 src1_sel:DWORD
	v_fma_f16 v12, v39, v63, v12
	v_fma_f16 v14, v39, v64, -v14
	v_sub_f16_e32 v12, v65, v12
	v_sub_f16_e32 v14, v66, v14
	v_and_b32_e32 v16, 0xff, v38
	v_fma_f16 v13, v65, 2.0, -v12
	v_fma_f16 v15, v66, 2.0, -v14
	v_lshl_add_u32 v16, v16, 2, v30
	v_pack_b32_f16 v13, v13, v15
	v_pack_b32_f16 v12, v12, v14
	v_add_u32_e32 v14, 0x400, v16
	ds_write2_b32 v14, v13, v12 offset0:84 offset1:101
.LBB0_21:
	s_or_b64 exec, exec, s[2:3]
	s_waitcnt lgkmcnt(0)
	s_barrier
	ds_read2_b32 v[12:13], v37 offset1:34
	ds_read2_b32 v[14:15], v37 offset0:68 offset1:102
	ds_read_b32 v24, v37 offset:544
	ds_read2_b32 v[16:17], v37 offset0:170 offset1:204
	v_add_u32_e32 v20, 0x200, v37
	s_waitcnt lgkmcnt(3)
	v_lshrrev_b32_e32 v25, 16, v13
	v_mul_f16_sdwa v35, v0, v25 dst_sel:DWORD dst_unused:UNUSED_PAD src0_sel:WORD_1 src1_sel:DWORD
	s_waitcnt lgkmcnt(2)
	v_lshrrev_b32_e32 v26, 16, v14
	v_fma_f16 v35, v0, v13, v35
	v_mul_f16_sdwa v13, v0, v13 dst_sel:DWORD dst_unused:UNUSED_PAD src0_sel:WORD_1 src1_sel:DWORD
	v_fma_f16 v0, v0, v25, -v13
	v_mul_f16_sdwa v13, v1, v26 dst_sel:DWORD dst_unused:UNUSED_PAD src0_sel:WORD_1 src1_sel:DWORD
	v_lshrrev_b32_e32 v27, 16, v15
	v_fma_f16 v13, v1, v14, v13
	v_mul_f16_sdwa v14, v1, v14 dst_sel:DWORD dst_unused:UNUSED_PAD src0_sel:WORD_1 src1_sel:DWORD
	v_fma_f16 v1, v1, v26, -v14
	v_mul_f16_sdwa v14, v2, v27 dst_sel:DWORD dst_unused:UNUSED_PAD src0_sel:WORD_1 src1_sel:DWORD
	s_waitcnt lgkmcnt(1)
	v_lshrrev_b32_e32 v28, 16, v24
	v_fma_f16 v14, v2, v15, v14
	v_mul_f16_sdwa v15, v2, v15 dst_sel:DWORD dst_unused:UNUSED_PAD src0_sel:WORD_1 src1_sel:DWORD
	ds_read2_b32 v[20:21], v20 offset0:110 offset1:144
	v_fma_f16 v2, v2, v27, -v15
	v_mul_f16_sdwa v15, v3, v28 dst_sel:DWORD dst_unused:UNUSED_PAD src0_sel:WORD_1 src1_sel:DWORD
	s_waitcnt lgkmcnt(1)
	v_lshrrev_b32_e32 v29, 16, v16
	v_fma_f16 v15, v3, v24, v15
	v_mul_f16_sdwa v24, v3, v24 dst_sel:DWORD dst_unused:UNUSED_PAD src0_sel:WORD_1 src1_sel:DWORD
	v_fma_f16 v3, v3, v28, -v24
	v_mul_f16_sdwa v24, v4, v29 dst_sel:DWORD dst_unused:UNUSED_PAD src0_sel:WORD_1 src1_sel:DWORD
	v_add_u32_e32 v22, 0x400, v37
	v_lshrrev_b32_e32 v30, 16, v17
	v_fma_f16 v24, v4, v16, v24
	v_mul_f16_sdwa v16, v4, v16 dst_sel:DWORD dst_unused:UNUSED_PAD src0_sel:WORD_1 src1_sel:DWORD
	ds_read2_b32 v[22:23], v22 offset0:50 offset1:84
	v_fma_f16 v4, v4, v29, -v16
	v_mul_f16_sdwa v16, v5, v30 dst_sel:DWORD dst_unused:UNUSED_PAD src0_sel:WORD_1 src1_sel:DWORD
	s_waitcnt lgkmcnt(1)
	v_lshrrev_b32_e32 v31, 16, v20
	v_fma_f16 v16, v5, v17, v16
	v_mul_f16_sdwa v17, v5, v17 dst_sel:DWORD dst_unused:UNUSED_PAD src0_sel:WORD_1 src1_sel:DWORD
	v_fma_f16 v5, v5, v30, -v17
	v_mul_f16_sdwa v17, v6, v31 dst_sel:DWORD dst_unused:UNUSED_PAD src0_sel:WORD_1 src1_sel:DWORD
	v_lshrrev_b32_e32 v32, 16, v21
	v_fma_f16 v17, v6, v20, v17
	v_mul_f16_sdwa v20, v6, v20 dst_sel:DWORD dst_unused:UNUSED_PAD src0_sel:WORD_1 src1_sel:DWORD
	v_fma_f16 v6, v6, v31, -v20
	v_mul_f16_sdwa v20, v7, v32 dst_sel:DWORD dst_unused:UNUSED_PAD src0_sel:WORD_1 src1_sel:DWORD
	s_waitcnt lgkmcnt(0)
	v_lshrrev_b32_e32 v33, 16, v22
	v_fma_f16 v20, v7, v21, v20
	v_mul_f16_sdwa v21, v7, v21 dst_sel:DWORD dst_unused:UNUSED_PAD src0_sel:WORD_1 src1_sel:DWORD
	v_fma_f16 v7, v7, v32, -v21
	v_mul_f16_sdwa v21, v18, v33 dst_sel:DWORD dst_unused:UNUSED_PAD src0_sel:WORD_1 src1_sel:DWORD
	v_lshrrev_b32_e32 v34, 16, v23
	v_fma_f16 v21, v18, v22, v21
	v_mul_f16_sdwa v22, v18, v22 dst_sel:DWORD dst_unused:UNUSED_PAD src0_sel:WORD_1 src1_sel:DWORD
	v_fma_f16 v18, v18, v33, -v22
	v_mul_f16_sdwa v22, v19, v34 dst_sel:DWORD dst_unused:UNUSED_PAD src0_sel:WORD_1 src1_sel:DWORD
	v_fma_f16 v22, v19, v23, v22
	v_mul_f16_sdwa v23, v19, v23 dst_sel:DWORD dst_unused:UNUSED_PAD src0_sel:WORD_1 src1_sel:DWORD
	v_fma_f16 v19, v19, v34, -v23
	v_add_f16_e32 v23, v12, v35
	v_add_f16_sdwa v25, v12, v0 dst_sel:DWORD dst_unused:UNUSED_PAD src0_sel:WORD_1 src1_sel:DWORD
	v_add_f16_e32 v23, v23, v13
	v_add_f16_e32 v25, v25, v1
	;; [unrolled: 1-line block ×17, first 2 shown]
	v_sub_f16_e32 v0, v0, v19
	v_add_f16_e32 v23, v23, v22
	v_add_f16_e32 v25, v25, v19
	;; [unrolled: 1-line block ×3, first 2 shown]
	v_sub_f16_e32 v22, v35, v22
	s_mov_b32 s5, 0xb853
	v_mul_f16_e32 v19, 0xb853, v0
	s_movk_i32 s6, 0x3abb
	v_mul_f16_e32 v29, 0x3abb, v27
	s_movk_i32 s7, 0x3853
	s_mov_b32 s1, 0xbb47
	v_mul_f16_e32 v31, 0xbb47, v0
	s_movk_i32 s2, 0x36a6
	v_mul_f16_e32 v33, 0x36a6, v27
	s_movk_i32 s3, 0x3b47
	s_mov_b32 s0, 0xbbeb
	v_mul_f16_e32 v35, 0xbbeb, v0
	s_mov_b32 s4, 0xb08e
	v_mul_f16_e32 v37, 0xb08e, v27
	s_movk_i32 s16, 0x3beb
	s_mov_b32 s17, 0xba0c
	v_mul_f16_e32 v39, 0xba0c, v0
	s_mov_b32 s18, 0xb93d
	;; [unrolled: 5-line block ×3, first 2 shown]
	v_mul_f16_e32 v27, 0xbbad, v27
	s_movk_i32 s22, 0x3482
	v_fma_f16 v28, v26, s6, v19
	v_fma_f16 v30, v22, s7, v29
	v_fma_f16 v19, v26, s6, -v19
	v_fma_f16 v29, v22, s5, v29
	v_fma_f16 v32, v26, s2, v31
	v_fma_f16 v34, v22, s3, v33
	v_fma_f16 v31, v26, s2, -v31
	v_fma_f16 v33, v22, s1, v33
	;; [unrolled: 4-line block ×5, first 2 shown]
	v_add_f16_e32 v26, v1, v18
	v_sub_f16_e32 v1, v1, v18
	v_add_f16_e32 v28, v12, v28
	v_add_f16_sdwa v30, v12, v30 dst_sel:DWORD dst_unused:UNUSED_PAD src0_sel:WORD_1 src1_sel:DWORD
	v_add_f16_e32 v19, v12, v19
	v_add_f16_sdwa v29, v12, v29 dst_sel:DWORD dst_unused:UNUSED_PAD src0_sel:WORD_1 src1_sel:DWORD
	;; [unrolled: 2-line block ×10, first 2 shown]
	v_add_f16_e32 v22, v13, v21
	v_mul_f16_e32 v18, 0xbb47, v1
	v_sub_f16_e32 v13, v13, v21
	v_fma_f16 v21, v22, s2, v18
	v_mul_f16_e32 v27, 0x36a6, v26
	v_fma_f16 v18, v22, s2, -v18
	v_add_f16_e32 v21, v21, v28
	v_fma_f16 v28, v13, s3, v27
	v_add_f16_e32 v18, v18, v19
	v_fma_f16 v19, v13, s1, v27
	v_mul_f16_e32 v27, 0xba0c, v1
	v_add_f16_e32 v28, v28, v30
	v_add_f16_e32 v19, v19, v29
	v_fma_f16 v29, v22, s18, v27
	v_mul_f16_e32 v30, 0xb93d, v26
	v_fma_f16 v27, v22, s18, -v27
	v_add_f16_e32 v29, v29, v32
	v_fma_f16 v32, v13, s19, v30
	v_add_f16_e32 v27, v27, v31
	v_fma_f16 v30, v13, s17, v30
	v_mul_f16_e32 v31, 0x3482, v1
	v_add_f16_e32 v32, v32, v34
	v_add_f16_e32 v30, v30, v33
	;; [unrolled: 10-line block ×3, first 2 shown]
	v_fma_f16 v37, v22, s4, v35
	v_mul_f16_e32 v38, 0xb08e, v26
	v_fma_f16 v35, v22, s4, -v35
	v_mul_f16_e32 v1, 0x3853, v1
	v_add_f16_e32 v37, v37, v40
	v_fma_f16 v40, v13, s0, v38
	v_add_f16_e32 v35, v35, v39
	v_fma_f16 v38, v13, s16, v38
	v_fma_f16 v39, v22, s6, v1
	v_mul_f16_e32 v26, 0x3abb, v26
	v_fma_f16 v1, v22, s6, -v1
	v_add_f16_e32 v38, v38, v41
	v_fma_f16 v41, v13, s5, v26
	v_add_f16_e32 v0, v1, v0
	v_fma_f16 v1, v13, s7, v26
	v_add_f16_e32 v13, v2, v7
	v_sub_f16_e32 v2, v2, v7
	v_add_f16_e32 v1, v1, v12
	v_add_f16_e32 v12, v14, v20
	v_mul_f16_e32 v7, 0xbbeb, v2
	v_sub_f16_e32 v14, v14, v20
	v_fma_f16 v20, v12, s4, v7
	v_add_f16_e32 v20, v20, v21
	v_mul_f16_e32 v21, 0xb08e, v13
	v_fma_f16 v7, v12, s4, -v7
	v_add_f16_e32 v7, v7, v18
	v_fma_f16 v18, v14, s0, v21
	v_add_f16_e32 v18, v18, v19
	v_mul_f16_e32 v19, 0x3482, v2
	v_fma_f16 v22, v14, s16, v21
	v_fma_f16 v21, v12, s21, v19
	v_fma_f16 v19, v12, s21, -v19
	v_mul_f16_e32 v26, 0xbbad, v13
	v_add_f16_e32 v19, v19, v27
	v_mul_f16_e32 v27, 0x3b47, v2
	v_add_f16_e32 v22, v22, v28
	v_add_f16_e32 v21, v21, v29
	v_fma_f16 v28, v14, s20, v26
	v_fma_f16 v26, v14, s22, v26
	;; [unrolled: 1-line block ×3, first 2 shown]
	v_fma_f16 v27, v12, s2, -v27
	v_add_f16_e32 v26, v26, v30
	v_mul_f16_e32 v30, 0x36a6, v13
	v_add_f16_e32 v27, v27, v31
	v_mul_f16_e32 v31, 0xb853, v2
	v_add_f16_e32 v28, v28, v32
	v_add_f16_e32 v29, v29, v33
	v_fma_f16 v32, v14, s1, v30
	v_fma_f16 v30, v14, s3, v30
	;; [unrolled: 1-line block ×3, first 2 shown]
	v_fma_f16 v31, v12, s6, -v31
	v_mul_f16_e32 v2, 0xba0c, v2
	v_add_f16_e32 v30, v30, v34
	v_mul_f16_e32 v34, 0x3abb, v13
	v_add_f16_e32 v31, v31, v35
	v_fma_f16 v35, v12, s18, v2
	v_mul_f16_e32 v13, 0xb93d, v13
	v_fma_f16 v2, v12, s18, -v2
	v_add_f16_e32 v0, v2, v0
	v_fma_f16 v2, v14, s17, v13
	v_add_f16_e32 v12, v3, v6
	v_sub_f16_e32 v3, v3, v6
	v_add_f16_e32 v1, v2, v1
	v_add_f16_e32 v2, v15, v17
	v_mul_f16_e32 v6, 0xba0c, v3
	v_add_f16_e32 v32, v32, v36
	v_add_f16_e32 v33, v33, v37
	v_fma_f16 v36, v14, s7, v34
	v_fma_f16 v34, v14, s5, v34
	;; [unrolled: 1-line block ×3, first 2 shown]
	v_sub_f16_e32 v13, v15, v17
	v_fma_f16 v14, v2, s18, v6
	v_mul_f16_e32 v15, 0xb93d, v12
	v_fma_f16 v6, v2, s18, -v6
	v_fma_f16 v17, v13, s19, v15
	v_add_f16_e32 v6, v6, v7
	v_fma_f16 v7, v13, s17, v15
	v_mul_f16_e32 v15, 0x3beb, v3
	v_add_f16_e32 v14, v14, v20
	v_add_f16_e32 v7, v7, v18
	v_fma_f16 v18, v2, s4, v15
	v_mul_f16_e32 v20, 0xb08e, v12
	v_fma_f16 v15, v2, s4, -v15
	v_add_f16_e32 v18, v18, v21
	v_fma_f16 v21, v13, s0, v20
	v_add_f16_e32 v15, v15, v19
	v_fma_f16 v19, v13, s16, v20
	v_mul_f16_e32 v20, 0xb853, v3
	v_add_f16_e32 v17, v17, v22
	v_fma_f16 v22, v2, s6, v20
	v_fma_f16 v20, v2, s6, -v20
	v_add_f16_e32 v19, v19, v26
	v_mul_f16_e32 v26, 0x3abb, v12
	v_add_f16_e32 v20, v20, v27
	v_mul_f16_e32 v27, 0xb482, v3
	v_add_f16_e32 v21, v21, v28
	v_add_f16_e32 v22, v22, v29
	v_fma_f16 v28, v13, s7, v26
	v_fma_f16 v26, v13, s5, v26
	;; [unrolled: 1-line block ×3, first 2 shown]
	v_fma_f16 v27, v2, s21, -v27
	v_mul_f16_e32 v3, 0x3b47, v3
	v_add_f16_e32 v26, v26, v30
	v_mul_f16_e32 v30, 0xbbad, v12
	v_add_f16_e32 v27, v27, v31
	v_fma_f16 v31, v2, s2, v3
	v_mul_f16_e32 v12, 0x36a6, v12
	v_fma_f16 v2, v2, s2, -v3
	v_add_f16_e32 v0, v2, v0
	v_fma_f16 v2, v13, s3, v12
	v_add_f16_e32 v3, v4, v5
	v_sub_f16_e32 v4, v4, v5
	v_add_f16_e32 v1, v2, v1
	v_add_f16_e32 v2, v24, v16
	v_mul_f16_e32 v5, 0xb482, v4
	v_add_f16_e32 v28, v28, v32
	v_add_f16_e32 v29, v29, v33
	v_fma_f16 v32, v13, s22, v30
	v_fma_f16 v30, v13, s20, v30
	;; [unrolled: 1-line block ×4, first 2 shown]
	v_sub_f16_e32 v12, v24, v16
	v_add_f16_e32 v13, v13, v14
	v_mul_f16_e32 v14, 0xbbad, v3
	v_fma_f16 v5, v2, s21, -v5
	v_add_f16_e32 v6, v5, v6
	v_fma_f16 v5, v12, s20, v14
	v_fma_f16 v16, v12, s22, v14
	v_add_f16_e32 v7, v5, v7
	v_mul_f16_e32 v5, 0x3853, v4
	v_add_f16_e32 v16, v16, v17
	v_fma_f16 v14, v2, s6, v5
	v_mul_f16_e32 v17, 0x3abb, v3
	v_fma_f16 v5, v2, s6, -v5
	v_add_f16_e32 v15, v5, v15
	v_fma_f16 v5, v12, s7, v17
	v_add_f16_e32 v14, v14, v18
	v_fma_f16 v18, v12, s5, v17
	v_add_f16_e32 v17, v5, v19
	v_mul_f16_e32 v5, 0xba0c, v4
	v_add_f16_e32 v18, v18, v21
	v_fma_f16 v19, v2, s18, v5
	v_mul_f16_e32 v21, 0xb93d, v3
	v_fma_f16 v5, v2, s18, -v5
	v_add_f16_e32 v19, v19, v22
	v_fma_f16 v22, v12, s19, v21
	v_add_f16_e32 v5, v5, v20
	v_fma_f16 v20, v12, s17, v21
	v_mul_f16_e32 v21, 0x3b47, v4
	v_fma_f16 v24, v2, s2, v21
	v_fma_f16 v21, v2, s2, -v21
	v_mul_f16_e32 v4, 0xbbeb, v4
	v_add_f16_e32 v40, v40, v42
	v_add_f16_e32 v20, v20, v26
	v_mul_f16_e32 v26, 0x36a6, v3
	v_add_f16_e32 v21, v21, v27
	v_fma_f16 v27, v2, s4, v4
	v_mul_f16_e32 v3, 0xb08e, v3
	v_fma_f16 v2, v2, s4, -v4
	v_add_f16_e32 v39, v39, v43
	v_add_f16_e32 v41, v41, v44
	;; [unrolled: 1-line block ×4, first 2 shown]
	v_fma_f16 v2, v12, s0, v3
	v_add_f16_e32 v35, v35, v39
	v_add_f16_e32 v37, v37, v41
	;; [unrolled: 1-line block ×4, first 2 shown]
	v_fma_f16 v28, v12, s1, v26
	v_add_f16_e32 v1, v2, v1
	v_pack_b32_f16 v2, v23, v25
	v_add_f16_e32 v34, v34, v38
	v_add_f16_e32 v31, v31, v35
	;; [unrolled: 1-line block ×5, first 2 shown]
	v_fma_f16 v29, v12, s16, v3
	ds_write_b32 v9, v2
	v_pack_b32_f16 v2, v13, v16
	v_pack_b32_f16 v3, v14, v18
	v_add_f16_e32 v30, v30, v34
	v_fma_f16 v26, v12, s3, v26
	v_add_f16_e32 v27, v27, v31
	v_add_f16_e32 v29, v29, v33
	ds_write2_b32 v9, v2, v3 offset0:34 offset1:68
	v_pack_b32_f16 v2, v19, v22
	v_pack_b32_f16 v3, v24, v28
	v_add_f16_e32 v26, v26, v30
	ds_write2_b32 v9, v2, v3 offset0:102 offset1:136
	v_pack_b32_f16 v2, v27, v29
	v_pack_b32_f16 v0, v0, v1
	ds_write2_b32 v9, v2, v0 offset0:170 offset1:204
	v_pack_b32_f16 v0, v21, v26
	v_pack_b32_f16 v1, v5, v20
	v_add_u32_e32 v5, 0x200, v9
	ds_write2_b32 v5, v0, v1 offset0:110 offset1:144
	v_pack_b32_f16 v0, v15, v17
	v_pack_b32_f16 v1, v6, v7
	v_add_u32_e32 v3, 0x400, v9
	ds_write2_b32 v3, v0, v1 offset0:50 offset1:84
	s_waitcnt lgkmcnt(0)
	s_barrier
	s_and_b64 exec, exec, vcc
	s_cbranch_execz .LBB0_23
; %bb.22:
	global_load_dword v18, v11, s[12:13]
	ds_read_b32 v19, v9
	v_mad_u64_u32 v[6:7], s[0:1], s10, v10, 0
	v_mov_b32_e32 v4, v7
	v_mad_u64_u32 v[16:17], s[0:1], s11, v10, v[4:5]
	s_waitcnt lgkmcnt(0)
	v_lshrrev_b32_e32 v4, 16, v19
	v_mad_u64_u32 v[12:13], s[0:1], s8, v8, 0
	v_mov_b32_e32 v14, v13
	s_mov_b32 s6, 0xb8d015e7
	v_mad_u64_u32 v[14:15], s[0:1], s9, v8, v[14:15]
	s_mov_b32 s7, 0x3f65e75b
	v_mov_b32_e32 v13, v14
	s_movk_i32 s16, 0x1ff
	v_mov_b32_e32 v1, s15
	s_movk_i32 s15, 0xffe
	;; [unrolled: 2-line block ×3, first 2 shown]
	v_mov_b32_e32 v0, s14
	s_mov_b32 s14, 0x8000
	s_mov_b32 s17, 0xffff
	s_mul_i32 s11, s9, 0x58
	s_waitcnt vmcnt(0)
	v_mul_f16_sdwa v7, v4, v18 dst_sel:DWORD dst_unused:UNUSED_PAD src0_sel:DWORD src1_sel:WORD_1
	v_mul_f16_sdwa v10, v19, v18 dst_sel:DWORD dst_unused:UNUSED_PAD src0_sel:DWORD src1_sel:WORD_1
	v_fma_f16 v7, v19, v18, v7
	v_fma_f16 v4, v18, v4, -v10
	v_cvt_f32_f16_e32 v10, v7
	v_cvt_f32_f16_e32 v4, v4
	v_mov_b32_e32 v7, v16
	v_lshl_add_u64 v[0:1], v[6:7], 2, v[0:1]
	v_cvt_f64_f32_e32 v[14:15], v10
	v_cvt_f64_f32_e32 v[16:17], v4
	v_mul_f64 v[14:15], v[14:15], s[6:7]
	v_mul_f64 v[16:17], v[16:17], s[6:7]
	v_and_or_b32 v4, v15, s16, v14
	v_and_or_b32 v16, v17, s16, v16
	v_cmp_ne_u32_e32 vcc, 0, v4
	v_lshrrev_b32_e32 v10, 8, v15
	v_bfe_u32 v14, v15, 20, 11
	v_cndmask_b32_e64 v4, 0, 1, vcc
	v_cmp_ne_u32_e32 vcc, 0, v16
	v_lshrrev_b32_e32 v18, 8, v17
	v_bfe_u32 v19, v17, 20, 11
	v_sub_u32_e32 v20, 0x3f1, v14
	v_cndmask_b32_e64 v16, 0, 1, vcc
	v_and_or_b32 v4, v10, s15, v4
	v_sub_u32_e32 v21, 0x3f1, v19
	v_med3_i32 v10, v20, 0, 13
	v_and_or_b32 v16, v18, s15, v16
	v_or_b32_e32 v20, 0x1000, v4
	v_add_u32_e32 v14, 0xfffffc10, v14
	v_med3_i32 v18, v21, 0, 13
	v_cmp_ne_u32_e32 vcc, 0, v4
	v_or_b32_e32 v22, 0x1000, v16
	v_lshrrev_b32_e32 v24, v10, v20
	v_add_u32_e32 v19, 0xfffffc10, v19
	v_lshl_or_b32 v21, v14, 12, v4
	v_cndmask_b32_e64 v4, 0, 1, vcc
	v_cmp_ne_u32_e32 vcc, 0, v16
	v_lshrrev_b32_e32 v25, v18, v22
	v_lshlrev_b32_e32 v10, v10, v24
	v_lshl_or_b32 v23, v19, 12, v16
	v_cndmask_b32_e64 v16, 0, 1, vcc
	v_lshlrev_b32_e32 v18, v18, v25
	v_cmp_ne_u32_e32 vcc, v10, v20
	v_lshl_or_b32 v4, v4, 9, v2
	v_lshl_or_b32 v16, v16, 9, v2
	v_cndmask_b32_e64 v10, 0, 1, vcc
	v_cmp_ne_u32_e32 vcc, v18, v22
	v_or_b32_e32 v10, v24, v10
	v_and_b32_sdwa v15, v15, s14 dst_sel:DWORD dst_unused:UNUSED_PAD src0_sel:WORD_1 src1_sel:DWORD
	v_cndmask_b32_e64 v18, 0, 1, vcc
	v_cmp_gt_i32_e32 vcc, 1, v14
	v_or_b32_e32 v18, v25, v18
	v_lshrrev_b32_e32 v17, 16, v17
	v_cndmask_b32_e32 v10, v21, v10, vcc
	v_cmp_gt_i32_e32 vcc, 1, v19
	v_and_b32_e32 v20, 7, v10
	v_cmp_eq_u32_e64 s[0:1], 3, v20
	v_cndmask_b32_e32 v18, v23, v18, vcc
	v_cmp_lt_i32_e32 vcc, 5, v20
	v_lshrrev_b32_e32 v10, 2, v10
	v_and_b32_e32 v21, 7, v18
	s_or_b64 vcc, s[0:1], vcc
	v_cmp_lt_i32_e64 s[2:3], 5, v21
	v_cmp_eq_u32_e64 s[4:5], 3, v21
	v_addc_co_u32_e32 v10, vcc, 0, v10, vcc
	v_lshrrev_b32_e32 v18, 2, v18
	s_or_b64 vcc, s[4:5], s[2:3]
	v_addc_co_u32_e32 v18, vcc, 0, v18, vcc
	v_cmp_gt_i32_e32 vcc, 31, v14
	v_lshl_add_u64 v[6:7], v[12:13], 2, v[0:1]
	ds_read2_b32 v[12:13], v9 offset0:22 offset1:44
	v_cndmask_b32_e32 v10, v2, v10, vcc
	v_cmp_gt_i32_e32 vcc, 31, v19
	s_nop 1
	v_cndmask_b32_e32 v18, v2, v18, vcc
	v_cmp_eq_u32_e32 vcc, s10, v14
	s_waitcnt lgkmcnt(0)
	v_lshrrev_b32_e32 v14, 16, v12
	v_cndmask_b32_e32 v4, v10, v4, vcc
	v_cmp_eq_u32_e32 vcc, s10, v19
	v_bitop3_b32 v4, v15, s17, v4 bitop3:0xc8
	s_nop 0
	v_cndmask_b32_e32 v10, v18, v16, vcc
	v_and_or_b32 v10, v17, s14, v10
	v_lshl_or_b32 v4, v10, 16, v4
	global_store_dword v[6:7], v4, off
	global_load_dword v10, v11, s[12:13] offset:88
	v_mov_b32_e32 v4, 0x58
	v_mad_u64_u32 v[6:7], s[0:1], s8, v4, v[6:7]
	v_add_u32_e32 v7, s11, v7
	s_waitcnt vmcnt(0)
	v_mul_f16_sdwa v15, v14, v10 dst_sel:DWORD dst_unused:UNUSED_PAD src0_sel:DWORD src1_sel:WORD_1
	v_mul_f16_sdwa v16, v12, v10 dst_sel:DWORD dst_unused:UNUSED_PAD src0_sel:DWORD src1_sel:WORD_1
	v_fma_f16 v12, v12, v10, v15
	v_fma_f16 v10, v10, v14, -v16
	v_cvt_f32_f16_e32 v12, v12
	v_cvt_f32_f16_e32 v10, v10
	v_cvt_f64_f32_e32 v[14:15], v12
	v_cvt_f64_f32_e32 v[16:17], v10
	v_mul_f64 v[14:15], v[14:15], s[6:7]
	v_mul_f64 v[16:17], v[16:17], s[6:7]
	v_and_or_b32 v10, v15, s16, v14
	v_and_or_b32 v16, v17, s16, v16
	v_cmp_ne_u32_e32 vcc, 0, v10
	v_lshrrev_b32_e32 v12, 8, v15
	v_bfe_u32 v14, v15, 20, 11
	v_cndmask_b32_e64 v10, 0, 1, vcc
	v_cmp_ne_u32_e32 vcc, 0, v16
	v_lshrrev_b32_e32 v18, 8, v17
	v_bfe_u32 v19, v17, 20, 11
	v_sub_u32_e32 v20, 0x3f1, v14
	v_cndmask_b32_e64 v16, 0, 1, vcc
	v_and_or_b32 v10, v12, s15, v10
	v_sub_u32_e32 v21, 0x3f1, v19
	v_med3_i32 v12, v20, 0, 13
	v_and_or_b32 v16, v18, s15, v16
	v_or_b32_e32 v20, 0x1000, v10
	v_add_u32_e32 v14, 0xfffffc10, v14
	v_med3_i32 v18, v21, 0, 13
	v_cmp_ne_u32_e32 vcc, 0, v10
	v_or_b32_e32 v22, 0x1000, v16
	v_lshrrev_b32_e32 v24, v12, v20
	v_add_u32_e32 v19, 0xfffffc10, v19
	v_lshl_or_b32 v21, v14, 12, v10
	v_cndmask_b32_e64 v10, 0, 1, vcc
	v_cmp_ne_u32_e32 vcc, 0, v16
	v_lshrrev_b32_e32 v25, v18, v22
	v_lshlrev_b32_e32 v12, v12, v24
	v_lshl_or_b32 v23, v19, 12, v16
	v_cndmask_b32_e64 v16, 0, 1, vcc
	v_lshlrev_b32_e32 v18, v18, v25
	v_cmp_ne_u32_e32 vcc, v12, v20
	v_lshl_or_b32 v10, v10, 9, v2
	v_lshl_or_b32 v16, v16, 9, v2
	v_cndmask_b32_e64 v12, 0, 1, vcc
	v_cmp_ne_u32_e32 vcc, v18, v22
	v_or_b32_e32 v12, v24, v12
	v_and_b32_sdwa v15, v15, s14 dst_sel:DWORD dst_unused:UNUSED_PAD src0_sel:WORD_1 src1_sel:DWORD
	v_cndmask_b32_e64 v18, 0, 1, vcc
	v_cmp_gt_i32_e32 vcc, 1, v14
	v_or_b32_e32 v18, v25, v18
	v_lshrrev_b32_e32 v17, 16, v17
	v_cndmask_b32_e32 v12, v21, v12, vcc
	v_cmp_gt_i32_e32 vcc, 1, v19
	v_and_b32_e32 v20, 7, v12
	v_cmp_eq_u32_e64 s[0:1], 3, v20
	v_cndmask_b32_e32 v18, v23, v18, vcc
	v_cmp_lt_i32_e32 vcc, 5, v20
	v_lshrrev_b32_e32 v12, 2, v12
	v_and_b32_e32 v21, 7, v18
	s_or_b64 vcc, s[0:1], vcc
	v_cmp_lt_i32_e64 s[2:3], 5, v21
	v_cmp_eq_u32_e64 s[4:5], 3, v21
	v_addc_co_u32_e32 v12, vcc, 0, v12, vcc
	v_lshrrev_b32_e32 v18, 2, v18
	s_or_b64 vcc, s[4:5], s[2:3]
	v_addc_co_u32_e32 v18, vcc, 0, v18, vcc
	v_cmp_gt_i32_e32 vcc, 31, v14
	s_nop 1
	v_cndmask_b32_e32 v12, v2, v12, vcc
	v_cmp_gt_i32_e32 vcc, 31, v19
	s_nop 1
	v_cndmask_b32_e32 v18, v2, v18, vcc
	v_cmp_eq_u32_e32 vcc, s10, v14
	s_nop 1
	v_cndmask_b32_e32 v10, v12, v10, vcc
	v_cmp_eq_u32_e32 vcc, s10, v19
	v_bitop3_b32 v10, v15, s17, v10 bitop3:0xc8
	s_nop 0
	v_cndmask_b32_e32 v12, v18, v16, vcc
	v_and_or_b32 v12, v17, s14, v12
	v_lshl_or_b32 v10, v12, 16, v10
	global_store_dword v[6:7], v10, off
	global_load_dword v10, v11, s[12:13] offset:176
	v_lshrrev_b32_e32 v12, 16, v13
	v_mad_u64_u32 v[6:7], s[0:1], s8, v4, v[6:7]
	v_add_u32_e32 v7, s11, v7
	s_waitcnt vmcnt(0)
	v_mul_f16_sdwa v14, v12, v10 dst_sel:DWORD dst_unused:UNUSED_PAD src0_sel:DWORD src1_sel:WORD_1
	v_mul_f16_sdwa v15, v13, v10 dst_sel:DWORD dst_unused:UNUSED_PAD src0_sel:DWORD src1_sel:WORD_1
	v_fma_f16 v13, v13, v10, v14
	v_fma_f16 v10, v10, v12, -v15
	v_cvt_f32_f16_e32 v12, v13
	v_cvt_f32_f16_e32 v10, v10
	v_cvt_f64_f32_e32 v[12:13], v12
	v_cvt_f64_f32_e32 v[14:15], v10
	v_mul_f64 v[12:13], v[12:13], s[6:7]
	v_mul_f64 v[14:15], v[14:15], s[6:7]
	v_and_or_b32 v10, v13, s16, v12
	v_and_or_b32 v14, v15, s16, v14
	v_cmp_ne_u32_e32 vcc, 0, v10
	v_lshrrev_b32_e32 v12, 8, v13
	v_bfe_u32 v16, v13, 20, 11
	v_cndmask_b32_e64 v10, 0, 1, vcc
	v_cmp_ne_u32_e32 vcc, 0, v14
	v_lshrrev_b32_e32 v17, 8, v15
	v_bfe_u32 v18, v15, 20, 11
	v_sub_u32_e32 v19, 0x3f1, v16
	v_cndmask_b32_e64 v14, 0, 1, vcc
	v_and_or_b32 v10, v12, s15, v10
	v_sub_u32_e32 v20, 0x3f1, v18
	v_med3_i32 v12, v19, 0, 13
	v_and_or_b32 v14, v17, s15, v14
	v_or_b32_e32 v19, 0x1000, v10
	v_add_u32_e32 v16, 0xfffffc10, v16
	v_med3_i32 v17, v20, 0, 13
	v_cmp_ne_u32_e32 vcc, 0, v10
	v_or_b32_e32 v21, 0x1000, v14
	v_lshrrev_b32_e32 v23, v12, v19
	v_add_u32_e32 v18, 0xfffffc10, v18
	v_lshl_or_b32 v20, v16, 12, v10
	v_cndmask_b32_e64 v10, 0, 1, vcc
	v_cmp_ne_u32_e32 vcc, 0, v14
	v_lshrrev_b32_e32 v24, v17, v21
	v_lshlrev_b32_e32 v12, v12, v23
	v_lshl_or_b32 v22, v18, 12, v14
	v_cndmask_b32_e64 v14, 0, 1, vcc
	v_lshlrev_b32_e32 v17, v17, v24
	v_cmp_ne_u32_e32 vcc, v12, v19
	v_lshl_or_b32 v10, v10, 9, v2
	v_lshl_or_b32 v14, v14, 9, v2
	v_cndmask_b32_e64 v12, 0, 1, vcc
	v_cmp_ne_u32_e32 vcc, v17, v21
	v_or_b32_e32 v12, v23, v12
	v_and_b32_sdwa v13, v13, s14 dst_sel:DWORD dst_unused:UNUSED_PAD src0_sel:WORD_1 src1_sel:DWORD
	v_cndmask_b32_e64 v17, 0, 1, vcc
	v_cmp_gt_i32_e32 vcc, 1, v16
	v_or_b32_e32 v17, v24, v17
	v_lshrrev_b32_e32 v15, 16, v15
	v_cndmask_b32_e32 v12, v20, v12, vcc
	v_cmp_gt_i32_e32 vcc, 1, v18
	v_and_b32_e32 v19, 7, v12
	v_cmp_eq_u32_e64 s[0:1], 3, v19
	v_cndmask_b32_e32 v17, v22, v17, vcc
	v_cmp_lt_i32_e32 vcc, 5, v19
	v_lshrrev_b32_e32 v12, 2, v12
	v_and_b32_e32 v20, 7, v17
	s_or_b64 vcc, s[0:1], vcc
	v_cmp_lt_i32_e64 s[2:3], 5, v20
	v_cmp_eq_u32_e64 s[4:5], 3, v20
	v_addc_co_u32_e32 v12, vcc, 0, v12, vcc
	v_lshrrev_b32_e32 v17, 2, v17
	s_or_b64 vcc, s[4:5], s[2:3]
	v_addc_co_u32_e32 v17, vcc, 0, v17, vcc
	v_cmp_gt_i32_e32 vcc, 31, v16
	s_nop 1
	v_cndmask_b32_e32 v12, v2, v12, vcc
	v_cmp_gt_i32_e32 vcc, 31, v18
	s_nop 1
	v_cndmask_b32_e32 v17, v2, v17, vcc
	v_cmp_eq_u32_e32 vcc, s10, v16
	s_nop 1
	v_cndmask_b32_e32 v10, v12, v10, vcc
	v_cmp_eq_u32_e32 vcc, s10, v18
	v_bitop3_b32 v10, v13, s17, v10 bitop3:0xc8
	s_nop 0
	v_cndmask_b32_e32 v12, v17, v14, vcc
	v_and_or_b32 v12, v15, s14, v12
	v_lshl_or_b32 v10, v12, 16, v10
	global_store_dword v[6:7], v10, off
	global_load_dword v10, v11, s[12:13] offset:264
	ds_read2_b32 v[12:13], v9 offset0:66 offset1:88
	v_mad_u64_u32 v[6:7], s[0:1], s8, v4, v[6:7]
	v_add_u32_e32 v7, s11, v7
	s_waitcnt lgkmcnt(0)
	v_lshrrev_b32_e32 v14, 16, v12
	s_waitcnt vmcnt(0)
	v_mul_f16_sdwa v15, v14, v10 dst_sel:DWORD dst_unused:UNUSED_PAD src0_sel:DWORD src1_sel:WORD_1
	v_mul_f16_sdwa v16, v12, v10 dst_sel:DWORD dst_unused:UNUSED_PAD src0_sel:DWORD src1_sel:WORD_1
	v_fma_f16 v12, v12, v10, v15
	v_fma_f16 v10, v10, v14, -v16
	v_cvt_f32_f16_e32 v12, v12
	v_cvt_f32_f16_e32 v10, v10
	v_cvt_f64_f32_e32 v[14:15], v12
	v_cvt_f64_f32_e32 v[16:17], v10
	v_mul_f64 v[14:15], v[14:15], s[6:7]
	v_mul_f64 v[16:17], v[16:17], s[6:7]
	v_and_or_b32 v10, v15, s16, v14
	v_and_or_b32 v16, v17, s16, v16
	v_cmp_ne_u32_e32 vcc, 0, v10
	v_lshrrev_b32_e32 v12, 8, v15
	v_bfe_u32 v14, v15, 20, 11
	v_cndmask_b32_e64 v10, 0, 1, vcc
	v_cmp_ne_u32_e32 vcc, 0, v16
	v_lshrrev_b32_e32 v18, 8, v17
	v_bfe_u32 v19, v17, 20, 11
	v_sub_u32_e32 v20, 0x3f1, v14
	v_cndmask_b32_e64 v16, 0, 1, vcc
	v_and_or_b32 v10, v12, s15, v10
	v_sub_u32_e32 v21, 0x3f1, v19
	v_med3_i32 v12, v20, 0, 13
	v_and_or_b32 v16, v18, s15, v16
	v_or_b32_e32 v20, 0x1000, v10
	v_add_u32_e32 v14, 0xfffffc10, v14
	v_med3_i32 v18, v21, 0, 13
	v_cmp_ne_u32_e32 vcc, 0, v10
	v_or_b32_e32 v22, 0x1000, v16
	v_lshrrev_b32_e32 v24, v12, v20
	v_add_u32_e32 v19, 0xfffffc10, v19
	v_lshl_or_b32 v21, v14, 12, v10
	v_cndmask_b32_e64 v10, 0, 1, vcc
	v_cmp_ne_u32_e32 vcc, 0, v16
	v_lshrrev_b32_e32 v25, v18, v22
	v_lshlrev_b32_e32 v12, v12, v24
	v_lshl_or_b32 v23, v19, 12, v16
	v_cndmask_b32_e64 v16, 0, 1, vcc
	v_lshlrev_b32_e32 v18, v18, v25
	v_cmp_ne_u32_e32 vcc, v12, v20
	v_lshl_or_b32 v10, v10, 9, v2
	v_lshl_or_b32 v16, v16, 9, v2
	v_cndmask_b32_e64 v12, 0, 1, vcc
	v_cmp_ne_u32_e32 vcc, v18, v22
	v_or_b32_e32 v12, v24, v12
	v_and_b32_sdwa v15, v15, s14 dst_sel:DWORD dst_unused:UNUSED_PAD src0_sel:WORD_1 src1_sel:DWORD
	v_cndmask_b32_e64 v18, 0, 1, vcc
	v_cmp_gt_i32_e32 vcc, 1, v14
	v_or_b32_e32 v18, v25, v18
	v_lshrrev_b32_e32 v17, 16, v17
	v_cndmask_b32_e32 v12, v21, v12, vcc
	v_cmp_gt_i32_e32 vcc, 1, v19
	v_and_b32_e32 v20, 7, v12
	v_cmp_eq_u32_e64 s[0:1], 3, v20
	v_cndmask_b32_e32 v18, v23, v18, vcc
	v_cmp_lt_i32_e32 vcc, 5, v20
	v_lshrrev_b32_e32 v12, 2, v12
	v_and_b32_e32 v21, 7, v18
	s_or_b64 vcc, s[0:1], vcc
	v_cmp_lt_i32_e64 s[2:3], 5, v21
	v_cmp_eq_u32_e64 s[4:5], 3, v21
	v_addc_co_u32_e32 v12, vcc, 0, v12, vcc
	v_lshrrev_b32_e32 v18, 2, v18
	s_or_b64 vcc, s[4:5], s[2:3]
	v_addc_co_u32_e32 v18, vcc, 0, v18, vcc
	v_cmp_gt_i32_e32 vcc, 31, v14
	s_nop 1
	v_cndmask_b32_e32 v12, v2, v12, vcc
	v_cmp_gt_i32_e32 vcc, 31, v19
	s_nop 1
	v_cndmask_b32_e32 v18, v2, v18, vcc
	v_cmp_eq_u32_e32 vcc, s10, v14
	s_nop 1
	v_cndmask_b32_e32 v10, v12, v10, vcc
	v_cmp_eq_u32_e32 vcc, s10, v19
	v_bitop3_b32 v10, v15, s17, v10 bitop3:0xc8
	s_nop 0
	v_cndmask_b32_e32 v12, v18, v16, vcc
	v_and_or_b32 v12, v17, s14, v12
	v_lshl_or_b32 v10, v12, 16, v10
	global_store_dword v[6:7], v10, off
	global_load_dword v10, v11, s[12:13] offset:352
	v_lshrrev_b32_e32 v12, 16, v13
	v_mad_u64_u32 v[6:7], s[0:1], s8, v4, v[6:7]
	v_add_u32_e32 v7, s11, v7
	s_waitcnt vmcnt(0)
	v_mul_f16_sdwa v14, v12, v10 dst_sel:DWORD dst_unused:UNUSED_PAD src0_sel:DWORD src1_sel:WORD_1
	v_mul_f16_sdwa v15, v13, v10 dst_sel:DWORD dst_unused:UNUSED_PAD src0_sel:DWORD src1_sel:WORD_1
	v_fma_f16 v13, v13, v10, v14
	v_fma_f16 v10, v10, v12, -v15
	v_cvt_f32_f16_e32 v12, v13
	v_cvt_f32_f16_e32 v10, v10
	v_cvt_f64_f32_e32 v[12:13], v12
	v_cvt_f64_f32_e32 v[14:15], v10
	v_mul_f64 v[12:13], v[12:13], s[6:7]
	v_mul_f64 v[14:15], v[14:15], s[6:7]
	v_and_or_b32 v10, v13, s16, v12
	v_and_or_b32 v14, v15, s16, v14
	v_cmp_ne_u32_e32 vcc, 0, v10
	v_lshrrev_b32_e32 v12, 8, v13
	v_bfe_u32 v16, v13, 20, 11
	v_cndmask_b32_e64 v10, 0, 1, vcc
	v_cmp_ne_u32_e32 vcc, 0, v14
	v_lshrrev_b32_e32 v17, 8, v15
	v_bfe_u32 v18, v15, 20, 11
	v_sub_u32_e32 v19, 0x3f1, v16
	v_cndmask_b32_e64 v14, 0, 1, vcc
	v_and_or_b32 v10, v12, s15, v10
	v_sub_u32_e32 v20, 0x3f1, v18
	v_med3_i32 v12, v19, 0, 13
	v_and_or_b32 v14, v17, s15, v14
	v_or_b32_e32 v19, 0x1000, v10
	v_add_u32_e32 v16, 0xfffffc10, v16
	v_med3_i32 v17, v20, 0, 13
	v_cmp_ne_u32_e32 vcc, 0, v10
	v_or_b32_e32 v21, 0x1000, v14
	v_lshrrev_b32_e32 v23, v12, v19
	v_add_u32_e32 v18, 0xfffffc10, v18
	v_lshl_or_b32 v20, v16, 12, v10
	v_cndmask_b32_e64 v10, 0, 1, vcc
	v_cmp_ne_u32_e32 vcc, 0, v14
	v_lshrrev_b32_e32 v24, v17, v21
	v_lshlrev_b32_e32 v12, v12, v23
	v_lshl_or_b32 v22, v18, 12, v14
	v_cndmask_b32_e64 v14, 0, 1, vcc
	v_lshlrev_b32_e32 v17, v17, v24
	v_cmp_ne_u32_e32 vcc, v12, v19
	v_lshl_or_b32 v10, v10, 9, v2
	v_lshl_or_b32 v14, v14, 9, v2
	v_cndmask_b32_e64 v12, 0, 1, vcc
	v_cmp_ne_u32_e32 vcc, v17, v21
	v_or_b32_e32 v12, v23, v12
	v_and_b32_sdwa v13, v13, s14 dst_sel:DWORD dst_unused:UNUSED_PAD src0_sel:WORD_1 src1_sel:DWORD
	v_cndmask_b32_e64 v17, 0, 1, vcc
	v_cmp_gt_i32_e32 vcc, 1, v16
	v_or_b32_e32 v17, v24, v17
	v_lshrrev_b32_e32 v15, 16, v15
	v_cndmask_b32_e32 v12, v20, v12, vcc
	v_cmp_gt_i32_e32 vcc, 1, v18
	v_and_b32_e32 v19, 7, v12
	v_cmp_eq_u32_e64 s[0:1], 3, v19
	v_cndmask_b32_e32 v17, v22, v17, vcc
	v_cmp_lt_i32_e32 vcc, 5, v19
	v_lshrrev_b32_e32 v12, 2, v12
	v_and_b32_e32 v20, 7, v17
	s_or_b64 vcc, s[0:1], vcc
	v_cmp_lt_i32_e64 s[2:3], 5, v20
	v_cmp_eq_u32_e64 s[4:5], 3, v20
	v_addc_co_u32_e32 v12, vcc, 0, v12, vcc
	v_lshrrev_b32_e32 v17, 2, v17
	s_or_b64 vcc, s[4:5], s[2:3]
	v_addc_co_u32_e32 v17, vcc, 0, v17, vcc
	v_cmp_gt_i32_e32 vcc, 31, v16
	s_nop 1
	v_cndmask_b32_e32 v12, v2, v12, vcc
	v_cmp_gt_i32_e32 vcc, 31, v18
	s_nop 1
	v_cndmask_b32_e32 v17, v2, v17, vcc
	v_cmp_eq_u32_e32 vcc, s10, v16
	s_nop 1
	v_cndmask_b32_e32 v10, v12, v10, vcc
	v_cmp_eq_u32_e32 vcc, s10, v18
	v_bitop3_b32 v10, v13, s17, v10 bitop3:0xc8
	s_nop 0
	v_cndmask_b32_e32 v12, v17, v14, vcc
	v_and_or_b32 v12, v15, s14, v12
	v_lshl_or_b32 v10, v12, 16, v10
	global_store_dword v[6:7], v10, off
	global_load_dword v10, v11, s[12:13] offset:440
	ds_read2_b32 v[12:13], v9 offset0:110 offset1:132
	v_mad_u64_u32 v[6:7], s[0:1], s8, v4, v[6:7]
	v_add_u32_e32 v7, s11, v7
	s_waitcnt lgkmcnt(0)
	v_lshrrev_b32_e32 v14, 16, v12
	s_waitcnt vmcnt(0)
	v_mul_f16_sdwa v15, v14, v10 dst_sel:DWORD dst_unused:UNUSED_PAD src0_sel:DWORD src1_sel:WORD_1
	v_mul_f16_sdwa v16, v12, v10 dst_sel:DWORD dst_unused:UNUSED_PAD src0_sel:DWORD src1_sel:WORD_1
	v_fma_f16 v12, v12, v10, v15
	v_fma_f16 v10, v10, v14, -v16
	v_cvt_f32_f16_e32 v12, v12
	v_cvt_f32_f16_e32 v10, v10
	v_cvt_f64_f32_e32 v[14:15], v12
	v_cvt_f64_f32_e32 v[16:17], v10
	v_mul_f64 v[14:15], v[14:15], s[6:7]
	v_mul_f64 v[16:17], v[16:17], s[6:7]
	v_and_or_b32 v10, v15, s16, v14
	v_and_or_b32 v16, v17, s16, v16
	v_cmp_ne_u32_e32 vcc, 0, v10
	v_lshrrev_b32_e32 v12, 8, v15
	v_bfe_u32 v14, v15, 20, 11
	v_cndmask_b32_e64 v10, 0, 1, vcc
	v_cmp_ne_u32_e32 vcc, 0, v16
	v_lshrrev_b32_e32 v18, 8, v17
	v_bfe_u32 v19, v17, 20, 11
	v_sub_u32_e32 v20, 0x3f1, v14
	v_cndmask_b32_e64 v16, 0, 1, vcc
	v_and_or_b32 v10, v12, s15, v10
	v_sub_u32_e32 v21, 0x3f1, v19
	v_med3_i32 v12, v20, 0, 13
	v_and_or_b32 v16, v18, s15, v16
	v_or_b32_e32 v20, 0x1000, v10
	v_add_u32_e32 v14, 0xfffffc10, v14
	v_med3_i32 v18, v21, 0, 13
	v_cmp_ne_u32_e32 vcc, 0, v10
	v_or_b32_e32 v22, 0x1000, v16
	v_lshrrev_b32_e32 v24, v12, v20
	v_add_u32_e32 v19, 0xfffffc10, v19
	v_lshl_or_b32 v21, v14, 12, v10
	v_cndmask_b32_e64 v10, 0, 1, vcc
	v_cmp_ne_u32_e32 vcc, 0, v16
	v_lshrrev_b32_e32 v25, v18, v22
	v_lshlrev_b32_e32 v12, v12, v24
	v_lshl_or_b32 v23, v19, 12, v16
	v_cndmask_b32_e64 v16, 0, 1, vcc
	v_lshlrev_b32_e32 v18, v18, v25
	v_cmp_ne_u32_e32 vcc, v12, v20
	v_lshl_or_b32 v10, v10, 9, v2
	v_lshl_or_b32 v16, v16, 9, v2
	v_cndmask_b32_e64 v12, 0, 1, vcc
	v_cmp_ne_u32_e32 vcc, v18, v22
	v_or_b32_e32 v12, v24, v12
	v_and_b32_sdwa v15, v15, s14 dst_sel:DWORD dst_unused:UNUSED_PAD src0_sel:WORD_1 src1_sel:DWORD
	v_cndmask_b32_e64 v18, 0, 1, vcc
	v_cmp_gt_i32_e32 vcc, 1, v14
	v_or_b32_e32 v18, v25, v18
	v_lshrrev_b32_e32 v17, 16, v17
	v_cndmask_b32_e32 v12, v21, v12, vcc
	v_cmp_gt_i32_e32 vcc, 1, v19
	v_and_b32_e32 v20, 7, v12
	v_cmp_eq_u32_e64 s[0:1], 3, v20
	v_cndmask_b32_e32 v18, v23, v18, vcc
	v_cmp_lt_i32_e32 vcc, 5, v20
	v_lshrrev_b32_e32 v12, 2, v12
	v_and_b32_e32 v21, 7, v18
	s_or_b64 vcc, s[0:1], vcc
	v_cmp_lt_i32_e64 s[2:3], 5, v21
	v_cmp_eq_u32_e64 s[4:5], 3, v21
	v_addc_co_u32_e32 v12, vcc, 0, v12, vcc
	v_lshrrev_b32_e32 v18, 2, v18
	s_or_b64 vcc, s[4:5], s[2:3]
	v_addc_co_u32_e32 v18, vcc, 0, v18, vcc
	v_cmp_gt_i32_e32 vcc, 31, v14
	s_nop 1
	v_cndmask_b32_e32 v12, v2, v12, vcc
	v_cmp_gt_i32_e32 vcc, 31, v19
	s_nop 1
	v_cndmask_b32_e32 v18, v2, v18, vcc
	v_cmp_eq_u32_e32 vcc, s10, v14
	s_nop 1
	v_cndmask_b32_e32 v10, v12, v10, vcc
	v_cmp_eq_u32_e32 vcc, s10, v19
	v_bitop3_b32 v10, v15, s17, v10 bitop3:0xc8
	s_nop 0
	v_cndmask_b32_e32 v12, v18, v16, vcc
	v_and_or_b32 v12, v17, s14, v12
	v_lshl_or_b32 v10, v12, 16, v10
	global_store_dword v[6:7], v10, off
	global_load_dword v10, v11, s[12:13] offset:528
	v_lshrrev_b32_e32 v12, 16, v13
	v_mad_u64_u32 v[6:7], s[0:1], s8, v4, v[6:7]
	v_add_u32_e32 v7, s11, v7
	s_waitcnt vmcnt(0)
	v_mul_f16_sdwa v14, v12, v10 dst_sel:DWORD dst_unused:UNUSED_PAD src0_sel:DWORD src1_sel:WORD_1
	v_mul_f16_sdwa v15, v13, v10 dst_sel:DWORD dst_unused:UNUSED_PAD src0_sel:DWORD src1_sel:WORD_1
	v_fma_f16 v13, v13, v10, v14
	v_fma_f16 v10, v10, v12, -v15
	v_cvt_f32_f16_e32 v12, v13
	v_cvt_f32_f16_e32 v10, v10
	v_cvt_f64_f32_e32 v[12:13], v12
	v_cvt_f64_f32_e32 v[14:15], v10
	v_mul_f64 v[12:13], v[12:13], s[6:7]
	v_mul_f64 v[14:15], v[14:15], s[6:7]
	v_and_or_b32 v10, v13, s16, v12
	v_and_or_b32 v14, v15, s16, v14
	v_cmp_ne_u32_e32 vcc, 0, v10
	v_lshrrev_b32_e32 v12, 8, v13
	v_bfe_u32 v16, v13, 20, 11
	v_cndmask_b32_e64 v10, 0, 1, vcc
	v_cmp_ne_u32_e32 vcc, 0, v14
	v_lshrrev_b32_e32 v17, 8, v15
	v_bfe_u32 v18, v15, 20, 11
	v_sub_u32_e32 v19, 0x3f1, v16
	v_cndmask_b32_e64 v14, 0, 1, vcc
	v_and_or_b32 v10, v12, s15, v10
	v_sub_u32_e32 v20, 0x3f1, v18
	v_med3_i32 v12, v19, 0, 13
	v_and_or_b32 v14, v17, s15, v14
	v_or_b32_e32 v19, 0x1000, v10
	v_add_u32_e32 v16, 0xfffffc10, v16
	v_med3_i32 v17, v20, 0, 13
	v_cmp_ne_u32_e32 vcc, 0, v10
	v_or_b32_e32 v21, 0x1000, v14
	v_lshrrev_b32_e32 v23, v12, v19
	v_add_u32_e32 v18, 0xfffffc10, v18
	v_lshl_or_b32 v20, v16, 12, v10
	v_cndmask_b32_e64 v10, 0, 1, vcc
	v_cmp_ne_u32_e32 vcc, 0, v14
	v_lshrrev_b32_e32 v24, v17, v21
	v_lshlrev_b32_e32 v12, v12, v23
	v_lshl_or_b32 v22, v18, 12, v14
	v_cndmask_b32_e64 v14, 0, 1, vcc
	v_lshlrev_b32_e32 v17, v17, v24
	v_cmp_ne_u32_e32 vcc, v12, v19
	v_lshl_or_b32 v10, v10, 9, v2
	v_lshl_or_b32 v14, v14, 9, v2
	v_cndmask_b32_e64 v12, 0, 1, vcc
	v_cmp_ne_u32_e32 vcc, v17, v21
	v_or_b32_e32 v12, v23, v12
	v_and_b32_sdwa v13, v13, s14 dst_sel:DWORD dst_unused:UNUSED_PAD src0_sel:WORD_1 src1_sel:DWORD
	v_cndmask_b32_e64 v17, 0, 1, vcc
	v_cmp_gt_i32_e32 vcc, 1, v16
	v_or_b32_e32 v17, v24, v17
	v_lshrrev_b32_e32 v15, 16, v15
	v_cndmask_b32_e32 v12, v20, v12, vcc
	v_cmp_gt_i32_e32 vcc, 1, v18
	v_and_b32_e32 v19, 7, v12
	v_cmp_eq_u32_e64 s[0:1], 3, v19
	v_cndmask_b32_e32 v17, v22, v17, vcc
	v_cmp_lt_i32_e32 vcc, 5, v19
	v_lshrrev_b32_e32 v12, 2, v12
	v_and_b32_e32 v20, 7, v17
	s_or_b64 vcc, s[0:1], vcc
	v_cmp_lt_i32_e64 s[2:3], 5, v20
	v_cmp_eq_u32_e64 s[4:5], 3, v20
	v_addc_co_u32_e32 v12, vcc, 0, v12, vcc
	v_lshrrev_b32_e32 v17, 2, v17
	s_or_b64 vcc, s[4:5], s[2:3]
	v_addc_co_u32_e32 v17, vcc, 0, v17, vcc
	v_cmp_gt_i32_e32 vcc, 31, v16
	s_nop 1
	v_cndmask_b32_e32 v12, v2, v12, vcc
	v_cmp_gt_i32_e32 vcc, 31, v18
	s_nop 1
	v_cndmask_b32_e32 v17, v2, v17, vcc
	v_cmp_eq_u32_e32 vcc, s10, v16
	s_nop 1
	v_cndmask_b32_e32 v10, v12, v10, vcc
	v_cmp_eq_u32_e32 vcc, s10, v18
	v_bitop3_b32 v10, v13, s17, v10 bitop3:0xc8
	s_nop 0
	v_cndmask_b32_e32 v12, v17, v14, vcc
	v_and_or_b32 v12, v15, s14, v12
	v_lshl_or_b32 v10, v12, 16, v10
	global_store_dword v[6:7], v10, off
	global_load_dword v10, v11, s[12:13] offset:616
	ds_read2_b32 v[12:13], v9 offset0:154 offset1:176
	v_mad_u64_u32 v[6:7], s[0:1], s8, v4, v[6:7]
	v_add_u32_e32 v7, s11, v7
	s_waitcnt lgkmcnt(0)
	v_lshrrev_b32_e32 v14, 16, v12
	s_waitcnt vmcnt(0)
	v_mul_f16_sdwa v15, v14, v10 dst_sel:DWORD dst_unused:UNUSED_PAD src0_sel:DWORD src1_sel:WORD_1
	v_mul_f16_sdwa v16, v12, v10 dst_sel:DWORD dst_unused:UNUSED_PAD src0_sel:DWORD src1_sel:WORD_1
	v_fma_f16 v12, v12, v10, v15
	v_fma_f16 v10, v10, v14, -v16
	v_cvt_f32_f16_e32 v12, v12
	v_cvt_f32_f16_e32 v10, v10
	v_cvt_f64_f32_e32 v[14:15], v12
	v_cvt_f64_f32_e32 v[16:17], v10
	v_mul_f64 v[14:15], v[14:15], s[6:7]
	v_mul_f64 v[16:17], v[16:17], s[6:7]
	v_and_or_b32 v10, v15, s16, v14
	v_and_or_b32 v16, v17, s16, v16
	v_cmp_ne_u32_e32 vcc, 0, v10
	v_lshrrev_b32_e32 v12, 8, v15
	v_bfe_u32 v14, v15, 20, 11
	v_cndmask_b32_e64 v10, 0, 1, vcc
	v_cmp_ne_u32_e32 vcc, 0, v16
	v_lshrrev_b32_e32 v18, 8, v17
	v_bfe_u32 v19, v17, 20, 11
	v_sub_u32_e32 v20, 0x3f1, v14
	v_cndmask_b32_e64 v16, 0, 1, vcc
	v_and_or_b32 v10, v12, s15, v10
	v_sub_u32_e32 v21, 0x3f1, v19
	v_med3_i32 v12, v20, 0, 13
	v_and_or_b32 v16, v18, s15, v16
	v_or_b32_e32 v20, 0x1000, v10
	v_add_u32_e32 v14, 0xfffffc10, v14
	v_med3_i32 v18, v21, 0, 13
	v_cmp_ne_u32_e32 vcc, 0, v10
	v_or_b32_e32 v22, 0x1000, v16
	v_lshrrev_b32_e32 v24, v12, v20
	v_add_u32_e32 v19, 0xfffffc10, v19
	v_lshl_or_b32 v21, v14, 12, v10
	v_cndmask_b32_e64 v10, 0, 1, vcc
	v_cmp_ne_u32_e32 vcc, 0, v16
	v_lshrrev_b32_e32 v25, v18, v22
	v_lshlrev_b32_e32 v12, v12, v24
	v_lshl_or_b32 v23, v19, 12, v16
	v_cndmask_b32_e64 v16, 0, 1, vcc
	v_lshlrev_b32_e32 v18, v18, v25
	v_cmp_ne_u32_e32 vcc, v12, v20
	v_lshl_or_b32 v10, v10, 9, v2
	v_lshl_or_b32 v16, v16, 9, v2
	v_cndmask_b32_e64 v12, 0, 1, vcc
	v_cmp_ne_u32_e32 vcc, v18, v22
	v_or_b32_e32 v12, v24, v12
	v_and_b32_sdwa v15, v15, s14 dst_sel:DWORD dst_unused:UNUSED_PAD src0_sel:WORD_1 src1_sel:DWORD
	v_cndmask_b32_e64 v18, 0, 1, vcc
	v_cmp_gt_i32_e32 vcc, 1, v14
	v_or_b32_e32 v18, v25, v18
	v_lshrrev_b32_e32 v17, 16, v17
	v_cndmask_b32_e32 v12, v21, v12, vcc
	v_cmp_gt_i32_e32 vcc, 1, v19
	v_and_b32_e32 v20, 7, v12
	v_cmp_eq_u32_e64 s[0:1], 3, v20
	v_cndmask_b32_e32 v18, v23, v18, vcc
	v_cmp_lt_i32_e32 vcc, 5, v20
	v_lshrrev_b32_e32 v12, 2, v12
	v_and_b32_e32 v21, 7, v18
	s_or_b64 vcc, s[0:1], vcc
	v_cmp_lt_i32_e64 s[2:3], 5, v21
	v_cmp_eq_u32_e64 s[4:5], 3, v21
	v_addc_co_u32_e32 v12, vcc, 0, v12, vcc
	v_lshrrev_b32_e32 v18, 2, v18
	s_or_b64 vcc, s[4:5], s[2:3]
	v_addc_co_u32_e32 v18, vcc, 0, v18, vcc
	v_cmp_gt_i32_e32 vcc, 31, v14
	s_nop 1
	v_cndmask_b32_e32 v12, v2, v12, vcc
	v_cmp_gt_i32_e32 vcc, 31, v19
	s_nop 1
	v_cndmask_b32_e32 v18, v2, v18, vcc
	v_cmp_eq_u32_e32 vcc, s10, v14
	s_nop 1
	v_cndmask_b32_e32 v10, v12, v10, vcc
	v_cmp_eq_u32_e32 vcc, s10, v19
	v_bitop3_b32 v10, v15, s17, v10 bitop3:0xc8
	s_nop 0
	v_cndmask_b32_e32 v12, v18, v16, vcc
	v_and_or_b32 v12, v17, s14, v12
	v_lshl_or_b32 v10, v12, 16, v10
	global_store_dword v[6:7], v10, off
	global_load_dword v10, v11, s[12:13] offset:704
	v_lshrrev_b32_e32 v12, 16, v13
	v_mad_u64_u32 v[6:7], s[0:1], s8, v4, v[6:7]
	v_add_u32_e32 v7, s11, v7
	s_waitcnt vmcnt(0)
	v_mul_f16_sdwa v14, v12, v10 dst_sel:DWORD dst_unused:UNUSED_PAD src0_sel:DWORD src1_sel:WORD_1
	v_mul_f16_sdwa v15, v13, v10 dst_sel:DWORD dst_unused:UNUSED_PAD src0_sel:DWORD src1_sel:WORD_1
	v_fma_f16 v13, v13, v10, v14
	v_fma_f16 v10, v10, v12, -v15
	v_cvt_f32_f16_e32 v12, v13
	v_cvt_f32_f16_e32 v10, v10
	v_cvt_f64_f32_e32 v[12:13], v12
	v_cvt_f64_f32_e32 v[14:15], v10
	v_mul_f64 v[12:13], v[12:13], s[6:7]
	v_mul_f64 v[14:15], v[14:15], s[6:7]
	v_and_or_b32 v10, v13, s16, v12
	v_and_or_b32 v14, v15, s16, v14
	v_cmp_ne_u32_e32 vcc, 0, v10
	v_lshrrev_b32_e32 v12, 8, v13
	v_bfe_u32 v16, v13, 20, 11
	v_cndmask_b32_e64 v10, 0, 1, vcc
	v_cmp_ne_u32_e32 vcc, 0, v14
	v_lshrrev_b32_e32 v17, 8, v15
	v_bfe_u32 v18, v15, 20, 11
	v_sub_u32_e32 v19, 0x3f1, v16
	v_cndmask_b32_e64 v14, 0, 1, vcc
	v_and_or_b32 v10, v12, s15, v10
	v_sub_u32_e32 v20, 0x3f1, v18
	v_med3_i32 v12, v19, 0, 13
	v_and_or_b32 v14, v17, s15, v14
	v_or_b32_e32 v19, 0x1000, v10
	v_add_u32_e32 v16, 0xfffffc10, v16
	v_med3_i32 v17, v20, 0, 13
	v_cmp_ne_u32_e32 vcc, 0, v10
	v_or_b32_e32 v21, 0x1000, v14
	v_lshrrev_b32_e32 v23, v12, v19
	v_add_u32_e32 v18, 0xfffffc10, v18
	v_lshl_or_b32 v20, v16, 12, v10
	v_cndmask_b32_e64 v10, 0, 1, vcc
	v_cmp_ne_u32_e32 vcc, 0, v14
	v_lshrrev_b32_e32 v24, v17, v21
	v_lshlrev_b32_e32 v12, v12, v23
	v_lshl_or_b32 v22, v18, 12, v14
	v_cndmask_b32_e64 v14, 0, 1, vcc
	v_lshlrev_b32_e32 v17, v17, v24
	v_cmp_ne_u32_e32 vcc, v12, v19
	v_lshl_or_b32 v10, v10, 9, v2
	v_lshl_or_b32 v14, v14, 9, v2
	v_cndmask_b32_e64 v12, 0, 1, vcc
	v_cmp_ne_u32_e32 vcc, v17, v21
	v_or_b32_e32 v12, v23, v12
	v_and_b32_sdwa v13, v13, s14 dst_sel:DWORD dst_unused:UNUSED_PAD src0_sel:WORD_1 src1_sel:DWORD
	v_cndmask_b32_e64 v17, 0, 1, vcc
	v_cmp_gt_i32_e32 vcc, 1, v16
	v_or_b32_e32 v17, v24, v17
	v_lshrrev_b32_e32 v15, 16, v15
	v_cndmask_b32_e32 v12, v20, v12, vcc
	v_cmp_gt_i32_e32 vcc, 1, v18
	v_and_b32_e32 v19, 7, v12
	v_cmp_eq_u32_e64 s[0:1], 3, v19
	v_cndmask_b32_e32 v17, v22, v17, vcc
	v_cmp_lt_i32_e32 vcc, 5, v19
	v_lshrrev_b32_e32 v12, 2, v12
	v_and_b32_e32 v20, 7, v17
	s_or_b64 vcc, s[0:1], vcc
	v_cmp_lt_i32_e64 s[2:3], 5, v20
	v_cmp_eq_u32_e64 s[4:5], 3, v20
	v_addc_co_u32_e32 v12, vcc, 0, v12, vcc
	v_lshrrev_b32_e32 v17, 2, v17
	s_or_b64 vcc, s[4:5], s[2:3]
	v_addc_co_u32_e32 v17, vcc, 0, v17, vcc
	v_cmp_gt_i32_e32 vcc, 31, v16
	s_nop 1
	v_cndmask_b32_e32 v12, v2, v12, vcc
	v_cmp_gt_i32_e32 vcc, 31, v18
	s_nop 1
	v_cndmask_b32_e32 v17, v2, v17, vcc
	v_cmp_eq_u32_e32 vcc, s10, v16
	s_nop 1
	v_cndmask_b32_e32 v10, v12, v10, vcc
	v_cmp_eq_u32_e32 vcc, s10, v18
	v_bitop3_b32 v10, v13, s17, v10 bitop3:0xc8
	s_nop 0
	v_cndmask_b32_e32 v12, v17, v14, vcc
	v_and_or_b32 v12, v15, s14, v12
	v_lshl_or_b32 v10, v12, 16, v10
	global_store_dword v[6:7], v10, off
	global_load_dword v10, v11, s[12:13] offset:792
	ds_read2_b32 v[12:13], v9 offset0:198 offset1:220
	v_mad_u64_u32 v[6:7], s[0:1], s8, v4, v[6:7]
	v_add_u32_e32 v7, s11, v7
	s_waitcnt lgkmcnt(0)
	v_lshrrev_b32_e32 v9, 16, v12
	s_waitcnt vmcnt(0)
	v_mul_f16_sdwa v14, v9, v10 dst_sel:DWORD dst_unused:UNUSED_PAD src0_sel:DWORD src1_sel:WORD_1
	v_mul_f16_sdwa v15, v12, v10 dst_sel:DWORD dst_unused:UNUSED_PAD src0_sel:DWORD src1_sel:WORD_1
	v_fma_f16 v12, v12, v10, v14
	v_fma_f16 v9, v10, v9, -v15
	v_cvt_f32_f16_e32 v10, v12
	v_cvt_f32_f16_e32 v9, v9
	v_cvt_f64_f32_e32 v[14:15], v10
	v_cvt_f64_f32_e32 v[16:17], v9
	v_mul_f64 v[14:15], v[14:15], s[6:7]
	v_mul_f64 v[16:17], v[16:17], s[6:7]
	v_and_or_b32 v9, v15, s16, v14
	v_lshrrev_b32_e32 v10, 8, v15
	v_bfe_u32 v12, v15, 20, 11
	v_and_b32_sdwa v14, v15, s14 dst_sel:DWORD dst_unused:UNUSED_PAD src0_sel:WORD_1 src1_sel:DWORD
	v_and_or_b32 v15, v17, s16, v16
	v_cmp_ne_u32_e32 vcc, 0, v9
	v_lshrrev_b32_e32 v16, 8, v17
	v_bfe_u32 v18, v17, 20, 11
	v_cndmask_b32_e64 v9, 0, 1, vcc
	v_cmp_ne_u32_e32 vcc, 0, v15
	v_sub_u32_e32 v19, 0x3f1, v12
	v_and_or_b32 v9, v10, s15, v9
	v_cndmask_b32_e64 v15, 0, 1, vcc
	v_sub_u32_e32 v20, 0x3f1, v18
	v_med3_i32 v10, v19, 0, 13
	v_and_or_b32 v15, v16, s15, v15
	v_or_b32_e32 v19, 0x1000, v9
	v_add_u32_e32 v12, 0xfffffc10, v12
	v_med3_i32 v16, v20, 0, 13
	v_cmp_ne_u32_e32 vcc, 0, v9
	v_or_b32_e32 v21, 0x1000, v15
	v_lshrrev_b32_e32 v23, v10, v19
	v_add_u32_e32 v18, 0xfffffc10, v18
	v_lshl_or_b32 v20, v12, 12, v9
	v_cndmask_b32_e64 v9, 0, 1, vcc
	v_cmp_ne_u32_e32 vcc, 0, v15
	v_lshrrev_b32_e32 v24, v16, v21
	v_lshlrev_b32_e32 v10, v10, v23
	v_lshl_or_b32 v22, v18, 12, v15
	v_cndmask_b32_e64 v15, 0, 1, vcc
	v_lshlrev_b32_e32 v16, v16, v24
	v_cmp_ne_u32_e32 vcc, v10, v19
	v_lshl_or_b32 v9, v9, 9, v2
	v_lshl_or_b32 v15, v15, 9, v2
	v_cndmask_b32_e64 v10, 0, 1, vcc
	v_cmp_ne_u32_e32 vcc, v16, v21
	v_or_b32_e32 v10, v23, v10
	v_lshrrev_b32_e32 v17, 16, v17
	v_cndmask_b32_e64 v16, 0, 1, vcc
	v_cmp_gt_i32_e32 vcc, 1, v12
	v_or_b32_e32 v16, v24, v16
	s_nop 0
	v_cndmask_b32_e32 v10, v20, v10, vcc
	v_cmp_gt_i32_e32 vcc, 1, v18
	v_and_b32_e32 v19, 7, v10
	v_cmp_eq_u32_e64 s[0:1], 3, v19
	v_cndmask_b32_e32 v16, v22, v16, vcc
	v_cmp_lt_i32_e32 vcc, 5, v19
	v_lshrrev_b32_e32 v10, 2, v10
	v_and_b32_e32 v20, 7, v16
	s_or_b64 vcc, s[0:1], vcc
	v_cmp_lt_i32_e64 s[2:3], 5, v20
	v_cmp_eq_u32_e64 s[4:5], 3, v20
	v_addc_co_u32_e32 v10, vcc, 0, v10, vcc
	v_lshrrev_b32_e32 v16, 2, v16
	s_or_b64 vcc, s[4:5], s[2:3]
	v_addc_co_u32_e32 v16, vcc, 0, v16, vcc
	v_cmp_gt_i32_e32 vcc, 31, v12
	s_nop 1
	v_cndmask_b32_e32 v10, v2, v10, vcc
	v_cmp_gt_i32_e32 vcc, 31, v18
	s_nop 1
	v_cndmask_b32_e32 v16, v2, v16, vcc
	v_cmp_eq_u32_e32 vcc, s10, v12
	s_nop 1
	v_cndmask_b32_e32 v9, v10, v9, vcc
	v_cmp_eq_u32_e32 vcc, s10, v18
	v_bitop3_b32 v9, v14, s17, v9 bitop3:0xc8
	s_nop 0
	v_cndmask_b32_e32 v10, v16, v15, vcc
	v_and_or_b32 v10, v17, s14, v10
	v_lshl_or_b32 v9, v10, 16, v9
	global_store_dword v[6:7], v9, off
	global_load_dword v9, v11, s[12:13] offset:880
	v_lshrrev_b32_e32 v10, 16, v13
	v_mad_u64_u32 v[6:7], s[0:1], s8, v4, v[6:7]
	v_add_u32_e32 v7, s11, v7
	s_waitcnt vmcnt(0)
	v_mul_f16_sdwa v12, v10, v9 dst_sel:DWORD dst_unused:UNUSED_PAD src0_sel:DWORD src1_sel:WORD_1
	v_mul_f16_sdwa v14, v13, v9 dst_sel:DWORD dst_unused:UNUSED_PAD src0_sel:DWORD src1_sel:WORD_1
	v_fma_f16 v12, v13, v9, v12
	v_fma_f16 v9, v9, v10, -v14
	v_cvt_f32_f16_e32 v10, v12
	v_cvt_f32_f16_e32 v9, v9
	v_cvt_f64_f32_e32 v[12:13], v10
	v_cvt_f64_f32_e32 v[14:15], v9
	v_mul_f64 v[12:13], v[12:13], s[6:7]
	v_mul_f64 v[14:15], v[14:15], s[6:7]
	v_and_or_b32 v9, v13, s16, v12
	v_and_or_b32 v14, v15, s16, v14
	v_cmp_ne_u32_e32 vcc, 0, v9
	v_lshrrev_b32_e32 v10, 8, v13
	v_bfe_u32 v12, v13, 20, 11
	v_cndmask_b32_e64 v9, 0, 1, vcc
	v_cmp_ne_u32_e32 vcc, 0, v14
	v_lshrrev_b32_e32 v16, 8, v15
	v_bfe_u32 v17, v15, 20, 11
	v_sub_u32_e32 v18, 0x3f1, v12
	v_cndmask_b32_e64 v14, 0, 1, vcc
	v_and_or_b32 v9, v10, s15, v9
	v_sub_u32_e32 v19, 0x3f1, v17
	v_med3_i32 v10, v18, 0, 13
	v_and_or_b32 v14, v16, s15, v14
	v_or_b32_e32 v18, 0x1000, v9
	v_add_u32_e32 v12, 0xfffffc10, v12
	v_med3_i32 v16, v19, 0, 13
	v_cmp_ne_u32_e32 vcc, 0, v9
	v_or_b32_e32 v20, 0x1000, v14
	v_lshrrev_b32_e32 v22, v10, v18
	v_add_u32_e32 v17, 0xfffffc10, v17
	v_lshl_or_b32 v19, v12, 12, v9
	v_cndmask_b32_e64 v9, 0, 1, vcc
	v_cmp_ne_u32_e32 vcc, 0, v14
	v_lshrrev_b32_e32 v23, v16, v20
	v_lshlrev_b32_e32 v10, v10, v22
	v_lshl_or_b32 v21, v17, 12, v14
	v_cndmask_b32_e64 v14, 0, 1, vcc
	v_lshlrev_b32_e32 v16, v16, v23
	v_cmp_ne_u32_e32 vcc, v10, v18
	v_lshl_or_b32 v9, v9, 9, v2
	v_lshl_or_b32 v14, v14, 9, v2
	v_cndmask_b32_e64 v10, 0, 1, vcc
	v_cmp_ne_u32_e32 vcc, v16, v20
	v_or_b32_e32 v10, v22, v10
	v_and_b32_sdwa v13, v13, s14 dst_sel:DWORD dst_unused:UNUSED_PAD src0_sel:WORD_1 src1_sel:DWORD
	v_cndmask_b32_e64 v16, 0, 1, vcc
	v_cmp_gt_i32_e32 vcc, 1, v12
	v_or_b32_e32 v16, v23, v16
	v_lshrrev_b32_e32 v15, 16, v15
	v_cndmask_b32_e32 v10, v19, v10, vcc
	v_cmp_gt_i32_e32 vcc, 1, v17
	v_and_b32_e32 v18, 7, v10
	v_cmp_eq_u32_e64 s[0:1], 3, v18
	v_cndmask_b32_e32 v16, v21, v16, vcc
	v_cmp_lt_i32_e32 vcc, 5, v18
	v_lshrrev_b32_e32 v10, 2, v10
	v_and_b32_e32 v19, 7, v16
	s_or_b64 vcc, s[0:1], vcc
	v_cmp_lt_i32_e64 s[2:3], 5, v19
	v_cmp_eq_u32_e64 s[4:5], 3, v19
	v_addc_co_u32_e32 v10, vcc, 0, v10, vcc
	v_lshrrev_b32_e32 v16, 2, v16
	s_or_b64 vcc, s[4:5], s[2:3]
	v_addc_co_u32_e32 v16, vcc, 0, v16, vcc
	v_cmp_gt_i32_e32 vcc, 31, v12
	s_nop 1
	v_cndmask_b32_e32 v10, v2, v10, vcc
	v_cmp_gt_i32_e32 vcc, 31, v17
	s_nop 1
	v_cndmask_b32_e32 v16, v2, v16, vcc
	v_cmp_eq_u32_e32 vcc, s10, v12
	s_nop 1
	v_cndmask_b32_e32 v9, v10, v9, vcc
	v_cmp_eq_u32_e32 vcc, s10, v17
	v_bitop3_b32 v9, v13, s17, v9 bitop3:0xc8
	ds_read2_b32 v[12:13], v5 offset0:114 offset1:136
	v_cndmask_b32_e32 v10, v16, v14, vcc
	v_and_or_b32 v10, v15, s14, v10
	v_lshl_or_b32 v9, v10, 16, v9
	global_store_dword v[6:7], v9, off
	global_load_dword v9, v11, s[12:13] offset:968
	s_waitcnt lgkmcnt(0)
	v_lshrrev_b32_e32 v5, 16, v12
	v_mad_u64_u32 v[6:7], s[0:1], s8, v4, v[6:7]
	v_add_u32_e32 v7, s11, v7
	s_waitcnt vmcnt(0)
	v_mul_f16_sdwa v10, v5, v9 dst_sel:DWORD dst_unused:UNUSED_PAD src0_sel:DWORD src1_sel:WORD_1
	v_mul_f16_sdwa v14, v12, v9 dst_sel:DWORD dst_unused:UNUSED_PAD src0_sel:DWORD src1_sel:WORD_1
	v_fma_f16 v10, v12, v9, v10
	v_fma_f16 v5, v9, v5, -v14
	v_cvt_f32_f16_e32 v9, v10
	v_cvt_f32_f16_e32 v5, v5
	v_cvt_f64_f32_e32 v[14:15], v9
	v_cvt_f64_f32_e32 v[16:17], v5
	v_mul_f64 v[14:15], v[14:15], s[6:7]
	v_mul_f64 v[16:17], v[16:17], s[6:7]
	v_and_or_b32 v5, v15, s16, v14
	v_and_or_b32 v14, v17, s16, v16
	v_cmp_ne_u32_e32 vcc, 0, v5
	v_lshrrev_b32_e32 v9, 8, v15
	v_bfe_u32 v10, v15, 20, 11
	v_cndmask_b32_e64 v5, 0, 1, vcc
	v_cmp_ne_u32_e32 vcc, 0, v14
	v_and_b32_sdwa v12, v15, s14 dst_sel:DWORD dst_unused:UNUSED_PAD src0_sel:WORD_1 src1_sel:DWORD
	v_lshrrev_b32_e32 v15, 8, v17
	v_bfe_u32 v16, v17, 20, 11
	v_sub_u32_e32 v18, 0x3f1, v10
	v_cndmask_b32_e64 v14, 0, 1, vcc
	v_and_or_b32 v5, v9, s15, v5
	v_sub_u32_e32 v19, 0x3f1, v16
	v_med3_i32 v9, v18, 0, 13
	v_and_or_b32 v14, v15, s15, v14
	v_or_b32_e32 v18, 0x1000, v5
	v_add_u32_e32 v10, 0xfffffc10, v10
	v_med3_i32 v15, v19, 0, 13
	v_cmp_ne_u32_e32 vcc, 0, v5
	v_or_b32_e32 v20, 0x1000, v14
	v_lshrrev_b32_e32 v22, v9, v18
	v_add_u32_e32 v16, 0xfffffc10, v16
	v_lshl_or_b32 v19, v10, 12, v5
	v_cndmask_b32_e64 v5, 0, 1, vcc
	v_cmp_ne_u32_e32 vcc, 0, v14
	v_lshrrev_b32_e32 v23, v15, v20
	v_lshlrev_b32_e32 v9, v9, v22
	v_lshl_or_b32 v21, v16, 12, v14
	v_cndmask_b32_e64 v14, 0, 1, vcc
	v_lshlrev_b32_e32 v15, v15, v23
	v_cmp_ne_u32_e32 vcc, v9, v18
	v_lshl_or_b32 v5, v5, 9, v2
	v_lshl_or_b32 v14, v14, 9, v2
	v_cndmask_b32_e64 v9, 0, 1, vcc
	v_cmp_ne_u32_e32 vcc, v15, v20
	v_or_b32_e32 v9, v22, v9
	v_lshrrev_b32_e32 v17, 16, v17
	v_cndmask_b32_e64 v15, 0, 1, vcc
	v_cmp_gt_i32_e32 vcc, 1, v10
	v_or_b32_e32 v15, v23, v15
	s_nop 0
	v_cndmask_b32_e32 v9, v19, v9, vcc
	v_cmp_gt_i32_e32 vcc, 1, v16
	v_and_b32_e32 v18, 7, v9
	v_cmp_eq_u32_e64 s[0:1], 3, v18
	v_cndmask_b32_e32 v15, v21, v15, vcc
	v_cmp_lt_i32_e32 vcc, 5, v18
	v_lshrrev_b32_e32 v9, 2, v9
	v_and_b32_e32 v19, 7, v15
	s_or_b64 vcc, s[0:1], vcc
	v_cmp_lt_i32_e64 s[2:3], 5, v19
	v_cmp_eq_u32_e64 s[4:5], 3, v19
	v_addc_co_u32_e32 v9, vcc, 0, v9, vcc
	v_lshrrev_b32_e32 v15, 2, v15
	s_or_b64 vcc, s[4:5], s[2:3]
	v_addc_co_u32_e32 v15, vcc, 0, v15, vcc
	v_cmp_gt_i32_e32 vcc, 31, v10
	s_nop 1
	v_cndmask_b32_e32 v9, v2, v9, vcc
	v_cmp_gt_i32_e32 vcc, 31, v16
	s_nop 1
	v_cndmask_b32_e32 v15, v2, v15, vcc
	v_cmp_eq_u32_e32 vcc, s10, v10
	s_nop 1
	v_cndmask_b32_e32 v5, v9, v5, vcc
	v_cmp_eq_u32_e32 vcc, s10, v16
	v_bitop3_b32 v5, v12, s17, v5 bitop3:0xc8
	s_nop 0
	v_cndmask_b32_e32 v9, v15, v14, vcc
	v_and_or_b32 v9, v17, s14, v9
	v_lshl_or_b32 v5, v9, 16, v5
	global_store_dword v[6:7], v5, off
	global_load_dword v5, v11, s[12:13] offset:1056
	v_lshrrev_b32_e32 v9, 16, v13
	v_mad_u64_u32 v[6:7], s[0:1], s8, v4, v[6:7]
	v_add_u32_e32 v7, s11, v7
	s_waitcnt vmcnt(0)
	v_mul_f16_sdwa v10, v9, v5 dst_sel:DWORD dst_unused:UNUSED_PAD src0_sel:DWORD src1_sel:WORD_1
	v_mul_f16_sdwa v12, v13, v5 dst_sel:DWORD dst_unused:UNUSED_PAD src0_sel:DWORD src1_sel:WORD_1
	v_fma_f16 v10, v13, v5, v10
	v_fma_f16 v5, v5, v9, -v12
	v_cvt_f32_f16_e32 v9, v10
	v_cvt_f32_f16_e32 v5, v5
	v_cvt_f64_f32_e32 v[12:13], v9
	v_cvt_f64_f32_e32 v[14:15], v5
	v_mul_f64 v[12:13], v[12:13], s[6:7]
	v_mul_f64 v[14:15], v[14:15], s[6:7]
	v_and_or_b32 v5, v13, s16, v12
	v_lshrrev_b32_e32 v9, 8, v13
	v_bfe_u32 v10, v13, 20, 11
	v_and_b32_sdwa v12, v13, s14 dst_sel:DWORD dst_unused:UNUSED_PAD src0_sel:WORD_1 src1_sel:DWORD
	v_and_or_b32 v13, v15, s16, v14
	v_cmp_ne_u32_e32 vcc, 0, v5
	v_lshrrev_b32_e32 v14, 8, v15
	v_bfe_u32 v16, v15, 20, 11
	v_cndmask_b32_e64 v5, 0, 1, vcc
	v_cmp_ne_u32_e32 vcc, 0, v13
	v_sub_u32_e32 v17, 0x3f1, v10
	v_and_or_b32 v5, v9, s15, v5
	v_cndmask_b32_e64 v13, 0, 1, vcc
	v_sub_u32_e32 v18, 0x3f1, v16
	v_med3_i32 v9, v17, 0, 13
	v_and_or_b32 v13, v14, s15, v13
	v_or_b32_e32 v17, 0x1000, v5
	v_add_u32_e32 v10, 0xfffffc10, v10
	v_med3_i32 v14, v18, 0, 13
	v_cmp_ne_u32_e32 vcc, 0, v5
	v_or_b32_e32 v19, 0x1000, v13
	v_lshrrev_b32_e32 v21, v9, v17
	v_add_u32_e32 v16, 0xfffffc10, v16
	v_lshl_or_b32 v18, v10, 12, v5
	v_cndmask_b32_e64 v5, 0, 1, vcc
	v_cmp_ne_u32_e32 vcc, 0, v13
	v_lshrrev_b32_e32 v22, v14, v19
	v_lshlrev_b32_e32 v9, v9, v21
	v_lshl_or_b32 v20, v16, 12, v13
	v_cndmask_b32_e64 v13, 0, 1, vcc
	v_lshlrev_b32_e32 v14, v14, v22
	v_cmp_ne_u32_e32 vcc, v9, v17
	v_lshl_or_b32 v5, v5, 9, v2
	v_lshl_or_b32 v13, v13, 9, v2
	v_cndmask_b32_e64 v9, 0, 1, vcc
	v_cmp_ne_u32_e32 vcc, v14, v19
	v_or_b32_e32 v9, v21, v9
	v_lshrrev_b32_e32 v15, 16, v15
	v_cndmask_b32_e64 v14, 0, 1, vcc
	v_cmp_gt_i32_e32 vcc, 1, v10
	v_or_b32_e32 v14, v22, v14
	s_nop 0
	v_cndmask_b32_e32 v9, v18, v9, vcc
	v_cmp_gt_i32_e32 vcc, 1, v16
	v_and_b32_e32 v17, 7, v9
	v_cmp_eq_u32_e64 s[0:1], 3, v17
	v_cndmask_b32_e32 v14, v20, v14, vcc
	v_cmp_lt_i32_e32 vcc, 5, v17
	v_lshrrev_b32_e32 v9, 2, v9
	v_and_b32_e32 v18, 7, v14
	s_or_b64 vcc, s[0:1], vcc
	v_cmp_lt_i32_e64 s[2:3], 5, v18
	v_cmp_eq_u32_e64 s[4:5], 3, v18
	v_addc_co_u32_e32 v9, vcc, 0, v9, vcc
	v_lshrrev_b32_e32 v14, 2, v14
	s_or_b64 vcc, s[4:5], s[2:3]
	v_addc_co_u32_e32 v14, vcc, 0, v14, vcc
	v_cmp_gt_i32_e32 vcc, 31, v10
	s_nop 1
	v_cndmask_b32_e32 v9, v2, v9, vcc
	v_cmp_gt_i32_e32 vcc, 31, v16
	s_nop 1
	v_cndmask_b32_e32 v14, v2, v14, vcc
	v_cmp_eq_u32_e32 vcc, s10, v10
	s_nop 1
	v_cndmask_b32_e32 v5, v9, v5, vcc
	v_cmp_eq_u32_e32 vcc, s10, v16
	v_bitop3_b32 v5, v12, s17, v5 bitop3:0xc8
	s_nop 0
	v_cndmask_b32_e32 v9, v14, v13, vcc
	v_and_or_b32 v9, v15, s14, v9
	v_lshl_or_b32 v5, v9, 16, v5
	global_store_dword v[6:7], v5, off
	global_load_dword v5, v11, s[12:13] offset:1144
	ds_read2_b32 v[12:13], v3 offset0:30 offset1:52
	v_mad_u64_u32 v[6:7], s[0:1], s8, v4, v[6:7]
	v_add_u32_e32 v7, s11, v7
	s_waitcnt lgkmcnt(0)
	v_lshrrev_b32_e32 v9, 16, v12
	s_waitcnt vmcnt(0)
	v_mul_f16_sdwa v10, v9, v5 dst_sel:DWORD dst_unused:UNUSED_PAD src0_sel:DWORD src1_sel:WORD_1
	v_mul_f16_sdwa v14, v12, v5 dst_sel:DWORD dst_unused:UNUSED_PAD src0_sel:DWORD src1_sel:WORD_1
	v_fma_f16 v10, v12, v5, v10
	v_fma_f16 v5, v5, v9, -v14
	v_cvt_f32_f16_e32 v9, v10
	v_cvt_f32_f16_e32 v5, v5
	v_cvt_f64_f32_e32 v[14:15], v9
	v_cvt_f64_f32_e32 v[16:17], v5
	v_mul_f64 v[14:15], v[14:15], s[6:7]
	v_mul_f64 v[16:17], v[16:17], s[6:7]
	v_and_or_b32 v5, v15, s16, v14
	v_and_or_b32 v14, v17, s16, v16
	v_cmp_ne_u32_e32 vcc, 0, v5
	v_lshrrev_b32_e32 v9, 8, v15
	v_bfe_u32 v10, v15, 20, 11
	v_cndmask_b32_e64 v5, 0, 1, vcc
	v_cmp_ne_u32_e32 vcc, 0, v14
	v_and_b32_sdwa v12, v15, s14 dst_sel:DWORD dst_unused:UNUSED_PAD src0_sel:WORD_1 src1_sel:DWORD
	v_lshrrev_b32_e32 v15, 8, v17
	v_bfe_u32 v16, v17, 20, 11
	v_sub_u32_e32 v18, 0x3f1, v10
	v_cndmask_b32_e64 v14, 0, 1, vcc
	v_and_or_b32 v5, v9, s15, v5
	v_sub_u32_e32 v19, 0x3f1, v16
	v_med3_i32 v9, v18, 0, 13
	v_and_or_b32 v14, v15, s15, v14
	v_or_b32_e32 v18, 0x1000, v5
	v_add_u32_e32 v10, 0xfffffc10, v10
	v_med3_i32 v15, v19, 0, 13
	v_cmp_ne_u32_e32 vcc, 0, v5
	v_or_b32_e32 v20, 0x1000, v14
	v_lshrrev_b32_e32 v22, v9, v18
	v_add_u32_e32 v16, 0xfffffc10, v16
	v_lshl_or_b32 v19, v10, 12, v5
	v_cndmask_b32_e64 v5, 0, 1, vcc
	v_cmp_ne_u32_e32 vcc, 0, v14
	v_lshrrev_b32_e32 v23, v15, v20
	v_lshlrev_b32_e32 v9, v9, v22
	v_lshl_or_b32 v21, v16, 12, v14
	v_cndmask_b32_e64 v14, 0, 1, vcc
	v_lshlrev_b32_e32 v15, v15, v23
	v_cmp_ne_u32_e32 vcc, v9, v18
	v_lshl_or_b32 v5, v5, 9, v2
	v_lshl_or_b32 v14, v14, 9, v2
	v_cndmask_b32_e64 v9, 0, 1, vcc
	v_cmp_ne_u32_e32 vcc, v15, v20
	v_or_b32_e32 v9, v22, v9
	v_lshrrev_b32_e32 v17, 16, v17
	v_cndmask_b32_e64 v15, 0, 1, vcc
	v_cmp_gt_i32_e32 vcc, 1, v10
	v_or_b32_e32 v15, v23, v15
	s_nop 0
	v_cndmask_b32_e32 v9, v19, v9, vcc
	v_cmp_gt_i32_e32 vcc, 1, v16
	v_and_b32_e32 v18, 7, v9
	v_cmp_eq_u32_e64 s[0:1], 3, v18
	v_cndmask_b32_e32 v15, v21, v15, vcc
	v_cmp_lt_i32_e32 vcc, 5, v18
	v_lshrrev_b32_e32 v9, 2, v9
	v_and_b32_e32 v19, 7, v15
	s_or_b64 vcc, s[0:1], vcc
	v_cmp_lt_i32_e64 s[2:3], 5, v19
	v_cmp_eq_u32_e64 s[4:5], 3, v19
	v_addc_co_u32_e32 v9, vcc, 0, v9, vcc
	v_lshrrev_b32_e32 v15, 2, v15
	s_or_b64 vcc, s[4:5], s[2:3]
	v_addc_co_u32_e32 v15, vcc, 0, v15, vcc
	v_cmp_gt_i32_e32 vcc, 31, v10
	s_nop 1
	v_cndmask_b32_e32 v9, v2, v9, vcc
	v_cmp_gt_i32_e32 vcc, 31, v16
	s_nop 1
	v_cndmask_b32_e32 v15, v2, v15, vcc
	v_cmp_eq_u32_e32 vcc, s10, v10
	s_nop 1
	v_cndmask_b32_e32 v5, v9, v5, vcc
	v_cmp_eq_u32_e32 vcc, s10, v16
	v_bitop3_b32 v5, v12, s17, v5 bitop3:0xc8
	s_nop 0
	v_cndmask_b32_e32 v9, v15, v14, vcc
	v_and_or_b32 v9, v17, s14, v9
	v_lshl_or_b32 v5, v9, 16, v5
	global_store_dword v[6:7], v5, off
	global_load_dword v5, v11, s[12:13] offset:1232
	v_lshrrev_b32_e32 v9, 16, v13
	v_mad_u64_u32 v[6:7], s[0:1], s8, v4, v[6:7]
	v_add_u32_e32 v7, s11, v7
	s_waitcnt vmcnt(0)
	v_mul_f16_sdwa v10, v9, v5 dst_sel:DWORD dst_unused:UNUSED_PAD src0_sel:DWORD src1_sel:WORD_1
	v_mul_f16_sdwa v12, v13, v5 dst_sel:DWORD dst_unused:UNUSED_PAD src0_sel:DWORD src1_sel:WORD_1
	v_fma_f16 v10, v13, v5, v10
	v_fma_f16 v5, v5, v9, -v12
	v_cvt_f32_f16_e32 v9, v10
	v_cvt_f32_f16_e32 v5, v5
	v_cvt_f64_f32_e32 v[12:13], v9
	v_cvt_f64_f32_e32 v[14:15], v5
	v_mul_f64 v[12:13], v[12:13], s[6:7]
	v_mul_f64 v[14:15], v[14:15], s[6:7]
	v_and_or_b32 v5, v13, s16, v12
	v_lshrrev_b32_e32 v9, 8, v13
	v_bfe_u32 v10, v13, 20, 11
	v_and_b32_sdwa v12, v13, s14 dst_sel:DWORD dst_unused:UNUSED_PAD src0_sel:WORD_1 src1_sel:DWORD
	v_and_or_b32 v13, v15, s16, v14
	v_cmp_ne_u32_e32 vcc, 0, v5
	v_lshrrev_b32_e32 v14, 8, v15
	v_bfe_u32 v16, v15, 20, 11
	v_cndmask_b32_e64 v5, 0, 1, vcc
	v_cmp_ne_u32_e32 vcc, 0, v13
	v_sub_u32_e32 v17, 0x3f1, v10
	v_and_or_b32 v5, v9, s15, v5
	v_cndmask_b32_e64 v13, 0, 1, vcc
	v_sub_u32_e32 v18, 0x3f1, v16
	v_med3_i32 v9, v17, 0, 13
	v_and_or_b32 v13, v14, s15, v13
	v_or_b32_e32 v17, 0x1000, v5
	v_add_u32_e32 v10, 0xfffffc10, v10
	v_med3_i32 v14, v18, 0, 13
	v_cmp_ne_u32_e32 vcc, 0, v5
	v_or_b32_e32 v19, 0x1000, v13
	v_lshrrev_b32_e32 v21, v9, v17
	v_add_u32_e32 v16, 0xfffffc10, v16
	v_lshl_or_b32 v18, v10, 12, v5
	v_cndmask_b32_e64 v5, 0, 1, vcc
	v_cmp_ne_u32_e32 vcc, 0, v13
	v_lshrrev_b32_e32 v22, v14, v19
	v_lshlrev_b32_e32 v9, v9, v21
	v_lshl_or_b32 v20, v16, 12, v13
	v_cndmask_b32_e64 v13, 0, 1, vcc
	v_lshlrev_b32_e32 v14, v14, v22
	v_cmp_ne_u32_e32 vcc, v9, v17
	v_lshl_or_b32 v5, v5, 9, v2
	v_lshl_or_b32 v13, v13, 9, v2
	v_cndmask_b32_e64 v9, 0, 1, vcc
	v_cmp_ne_u32_e32 vcc, v14, v19
	v_or_b32_e32 v9, v21, v9
	v_lshrrev_b32_e32 v15, 16, v15
	v_cndmask_b32_e64 v14, 0, 1, vcc
	v_cmp_gt_i32_e32 vcc, 1, v10
	v_or_b32_e32 v14, v22, v14
	s_nop 0
	v_cndmask_b32_e32 v9, v18, v9, vcc
	v_cmp_gt_i32_e32 vcc, 1, v16
	v_and_b32_e32 v17, 7, v9
	v_cmp_eq_u32_e64 s[0:1], 3, v17
	v_cndmask_b32_e32 v14, v20, v14, vcc
	v_cmp_lt_i32_e32 vcc, 5, v17
	v_lshrrev_b32_e32 v9, 2, v9
	v_and_b32_e32 v18, 7, v14
	s_or_b64 vcc, s[0:1], vcc
	v_cmp_lt_i32_e64 s[2:3], 5, v18
	v_cmp_eq_u32_e64 s[4:5], 3, v18
	v_addc_co_u32_e32 v9, vcc, 0, v9, vcc
	v_lshrrev_b32_e32 v14, 2, v14
	s_or_b64 vcc, s[4:5], s[2:3]
	v_addc_co_u32_e32 v14, vcc, 0, v14, vcc
	v_cmp_gt_i32_e32 vcc, 31, v10
	s_nop 1
	v_cndmask_b32_e32 v9, v2, v9, vcc
	v_cmp_gt_i32_e32 vcc, 31, v16
	s_nop 1
	v_cndmask_b32_e32 v14, v2, v14, vcc
	v_cmp_eq_u32_e32 vcc, s10, v10
	s_nop 1
	v_cndmask_b32_e32 v5, v9, v5, vcc
	v_cmp_eq_u32_e32 vcc, s10, v16
	v_bitop3_b32 v5, v12, s17, v5 bitop3:0xc8
	s_nop 0
	v_cndmask_b32_e32 v9, v14, v13, vcc
	v_and_or_b32 v9, v15, s14, v9
	v_lshl_or_b32 v5, v9, 16, v5
	global_store_dword v[6:7], v5, off
	global_load_dword v5, v11, s[12:13] offset:1320
	ds_read2_b32 v[12:13], v3 offset0:74 offset1:96
	s_waitcnt lgkmcnt(0)
	v_lshrrev_b32_e32 v3, 16, v12
	s_waitcnt vmcnt(0)
	v_mul_f16_sdwa v9, v3, v5 dst_sel:DWORD dst_unused:UNUSED_PAD src0_sel:DWORD src1_sel:WORD_1
	v_mul_f16_sdwa v10, v12, v5 dst_sel:DWORD dst_unused:UNUSED_PAD src0_sel:DWORD src1_sel:WORD_1
	v_fma_f16 v9, v12, v5, v9
	v_fma_f16 v3, v5, v3, -v10
	v_cvt_f32_f16_e32 v9, v9
	v_cvt_f32_f16_e32 v3, v3
	v_mad_u64_u32 v[4:5], s[0:1], s8, v4, v[6:7]
	v_cvt_f64_f32_e32 v[6:7], v9
	v_cvt_f64_f32_e32 v[14:15], v3
	v_mul_f64 v[6:7], v[6:7], s[6:7]
	v_mul_f64 v[14:15], v[14:15], s[6:7]
	v_and_or_b32 v3, v7, s16, v6
	v_and_or_b32 v10, v15, s16, v14
	v_cmp_ne_u32_e32 vcc, 0, v3
	v_lshrrev_b32_e32 v6, 8, v7
	v_bfe_u32 v9, v7, 20, 11
	v_cndmask_b32_e64 v3, 0, 1, vcc
	v_cmp_ne_u32_e32 vcc, 0, v10
	v_lshrrev_b32_e32 v12, 8, v15
	v_bfe_u32 v14, v15, 20, 11
	v_sub_u32_e32 v16, 0x3f1, v9
	v_cndmask_b32_e64 v10, 0, 1, vcc
	v_and_or_b32 v3, v6, s15, v3
	v_sub_u32_e32 v17, 0x3f1, v14
	v_med3_i32 v6, v16, 0, 13
	v_and_or_b32 v10, v12, s15, v10
	v_or_b32_e32 v16, 0x1000, v3
	v_add_u32_e32 v9, 0xfffffc10, v9
	v_med3_i32 v12, v17, 0, 13
	v_cmp_ne_u32_e32 vcc, 0, v3
	v_or_b32_e32 v18, 0x1000, v10
	v_lshrrev_b32_e32 v20, v6, v16
	v_add_u32_e32 v14, 0xfffffc10, v14
	v_lshl_or_b32 v17, v9, 12, v3
	v_cndmask_b32_e64 v3, 0, 1, vcc
	v_cmp_ne_u32_e32 vcc, 0, v10
	v_lshrrev_b32_e32 v21, v12, v18
	v_lshlrev_b32_e32 v6, v6, v20
	v_lshl_or_b32 v19, v14, 12, v10
	v_cndmask_b32_e64 v10, 0, 1, vcc
	v_lshlrev_b32_e32 v12, v12, v21
	v_cmp_ne_u32_e32 vcc, v6, v16
	v_lshl_or_b32 v3, v3, 9, v2
	v_lshl_or_b32 v10, v10, 9, v2
	v_cndmask_b32_e64 v6, 0, 1, vcc
	v_cmp_ne_u32_e32 vcc, v12, v18
	v_or_b32_e32 v6, v20, v6
	v_and_b32_sdwa v7, v7, s14 dst_sel:DWORD dst_unused:UNUSED_PAD src0_sel:WORD_1 src1_sel:DWORD
	v_cndmask_b32_e64 v12, 0, 1, vcc
	v_cmp_gt_i32_e32 vcc, 1, v9
	v_or_b32_e32 v12, v21, v12
	v_lshrrev_b32_e32 v15, 16, v15
	v_cndmask_b32_e32 v6, v17, v6, vcc
	v_cmp_gt_i32_e32 vcc, 1, v14
	v_and_b32_e32 v16, 7, v6
	v_cmp_eq_u32_e64 s[0:1], 3, v16
	v_cndmask_b32_e32 v12, v19, v12, vcc
	v_cmp_lt_i32_e32 vcc, 5, v16
	v_lshrrev_b32_e32 v6, 2, v6
	v_and_b32_e32 v17, 7, v12
	s_or_b64 vcc, s[0:1], vcc
	v_cmp_lt_i32_e64 s[2:3], 5, v17
	v_cmp_eq_u32_e64 s[4:5], 3, v17
	v_addc_co_u32_e32 v6, vcc, 0, v6, vcc
	v_lshrrev_b32_e32 v12, 2, v12
	s_or_b64 vcc, s[4:5], s[2:3]
	v_addc_co_u32_e32 v12, vcc, 0, v12, vcc
	v_cmp_gt_i32_e32 vcc, 31, v9
	v_add_u32_e32 v5, s11, v5
	s_nop 0
	v_cndmask_b32_e32 v6, v2, v6, vcc
	v_cmp_gt_i32_e32 vcc, 31, v14
	s_nop 1
	v_cndmask_b32_e32 v12, v2, v12, vcc
	v_cmp_eq_u32_e32 vcc, s10, v9
	s_nop 1
	v_cndmask_b32_e32 v3, v6, v3, vcc
	v_cmp_eq_u32_e32 vcc, s10, v14
	v_bitop3_b32 v3, v7, s17, v3 bitop3:0xc8
	v_or_b32_e32 v7, 0x160, v8
	v_cndmask_b32_e32 v6, v12, v10, vcc
	v_and_or_b32 v6, v15, s14, v6
	v_lshl_or_b32 v3, v6, 16, v3
	global_store_dword v[4:5], v3, off
	global_load_dword v3, v11, s[12:13] offset:1408
	v_mad_u64_u32 v[4:5], s[0:1], s8, v7, 0
	v_mov_b32_e32 v6, v5
	v_lshrrev_b32_e32 v5, 16, v13
	v_mad_u64_u32 v[6:7], s[0:1], s9, v7, v[6:7]
	s_waitcnt vmcnt(0)
	v_mul_f16_sdwa v8, v5, v3 dst_sel:DWORD dst_unused:UNUSED_PAD src0_sel:DWORD src1_sel:WORD_1
	v_mul_f16_sdwa v9, v13, v3 dst_sel:DWORD dst_unused:UNUSED_PAD src0_sel:DWORD src1_sel:WORD_1
	v_fma_f16 v8, v13, v3, v8
	v_fma_f16 v3, v3, v5, -v9
	v_cvt_f32_f16_e32 v8, v8
	v_cvt_f32_f16_e32 v3, v3
	v_mov_b32_e32 v5, v6
	v_lshl_add_u64 v[0:1], v[4:5], 2, v[0:1]
	v_cvt_f64_f32_e32 v[6:7], v8
	v_cvt_f64_f32_e32 v[8:9], v3
	v_mul_f64 v[6:7], v[6:7], s[6:7]
	v_mul_f64 v[8:9], v[8:9], s[6:7]
	v_and_or_b32 v3, v7, s16, v6
	v_and_or_b32 v8, v9, s16, v8
	v_cmp_ne_u32_e32 vcc, 0, v3
	v_lshrrev_b32_e32 v6, 8, v7
	v_bfe_u32 v10, v7, 20, 11
	v_cndmask_b32_e64 v3, 0, 1, vcc
	v_cmp_ne_u32_e32 vcc, 0, v8
	v_lshrrev_b32_e32 v11, 8, v9
	v_bfe_u32 v12, v9, 20, 11
	v_sub_u32_e32 v13, 0x3f1, v10
	v_cndmask_b32_e64 v8, 0, 1, vcc
	v_and_or_b32 v3, v6, s15, v3
	v_sub_u32_e32 v14, 0x3f1, v12
	v_med3_i32 v6, v13, 0, 13
	v_and_or_b32 v8, v11, s15, v8
	v_or_b32_e32 v13, 0x1000, v3
	v_add_u32_e32 v10, 0xfffffc10, v10
	v_med3_i32 v11, v14, 0, 13
	v_cmp_ne_u32_e32 vcc, 0, v3
	v_or_b32_e32 v15, 0x1000, v8
	v_lshrrev_b32_e32 v17, v6, v13
	v_add_u32_e32 v12, 0xfffffc10, v12
	v_lshl_or_b32 v14, v10, 12, v3
	v_cndmask_b32_e64 v3, 0, 1, vcc
	v_cmp_ne_u32_e32 vcc, 0, v8
	v_lshrrev_b32_e32 v18, v11, v15
	v_lshlrev_b32_e32 v6, v6, v17
	v_lshl_or_b32 v16, v12, 12, v8
	v_cndmask_b32_e64 v8, 0, 1, vcc
	v_lshlrev_b32_e32 v11, v11, v18
	v_cmp_ne_u32_e32 vcc, v6, v13
	v_lshl_or_b32 v3, v3, 9, v2
	v_lshl_or_b32 v8, v8, 9, v2
	v_cndmask_b32_e64 v6, 0, 1, vcc
	v_cmp_ne_u32_e32 vcc, v11, v15
	v_or_b32_e32 v6, v17, v6
	v_and_b32_sdwa v7, v7, s14 dst_sel:DWORD dst_unused:UNUSED_PAD src0_sel:WORD_1 src1_sel:DWORD
	v_cndmask_b32_e64 v11, 0, 1, vcc
	v_cmp_gt_i32_e32 vcc, 1, v10
	v_or_b32_e32 v11, v18, v11
	v_lshrrev_b32_e32 v9, 16, v9
	v_cndmask_b32_e32 v6, v14, v6, vcc
	v_cmp_gt_i32_e32 vcc, 1, v12
	v_and_b32_e32 v13, 7, v6
	v_cmp_eq_u32_e64 s[0:1], 3, v13
	v_cndmask_b32_e32 v11, v16, v11, vcc
	v_cmp_lt_i32_e32 vcc, 5, v13
	v_lshrrev_b32_e32 v6, 2, v6
	v_and_b32_e32 v14, 7, v11
	s_or_b64 vcc, s[0:1], vcc
	v_cmp_lt_i32_e64 s[2:3], 5, v14
	v_cmp_eq_u32_e64 s[4:5], 3, v14
	v_addc_co_u32_e32 v6, vcc, 0, v6, vcc
	v_lshrrev_b32_e32 v11, 2, v11
	s_or_b64 vcc, s[4:5], s[2:3]
	v_addc_co_u32_e32 v11, vcc, 0, v11, vcc
	v_cmp_gt_i32_e32 vcc, 31, v10
	s_nop 1
	v_cndmask_b32_e32 v6, v2, v6, vcc
	v_cmp_gt_i32_e32 vcc, 31, v12
	s_nop 1
	v_cndmask_b32_e32 v2, v2, v11, vcc
	v_cmp_eq_u32_e32 vcc, s10, v10
	s_nop 1
	v_cndmask_b32_e32 v3, v6, v3, vcc
	v_cmp_eq_u32_e32 vcc, s10, v12
	v_bitop3_b32 v3, v7, s17, v3 bitop3:0xc8
	s_nop 0
	v_cndmask_b32_e32 v2, v2, v8, vcc
	v_and_or_b32 v2, v9, s14, v2
	v_lshl_or_b32 v2, v2, 16, v3
	global_store_dword v[0:1], v2, off
.LBB0_23:
	s_endpgm
	.section	.rodata,"a",@progbits
	.p2align	6, 0x0
	.amdhsa_kernel bluestein_single_back_len374_dim1_half_op_CI_CI
		.amdhsa_group_segment_fixed_size 10472
		.amdhsa_private_segment_fixed_size 0
		.amdhsa_kernarg_size 104
		.amdhsa_user_sgpr_count 2
		.amdhsa_user_sgpr_dispatch_ptr 0
		.amdhsa_user_sgpr_queue_ptr 0
		.amdhsa_user_sgpr_kernarg_segment_ptr 1
		.amdhsa_user_sgpr_dispatch_id 0
		.amdhsa_user_sgpr_kernarg_preload_length 0
		.amdhsa_user_sgpr_kernarg_preload_offset 0
		.amdhsa_user_sgpr_private_segment_size 0
		.amdhsa_uses_dynamic_stack 0
		.amdhsa_enable_private_segment 0
		.amdhsa_system_sgpr_workgroup_id_x 1
		.amdhsa_system_sgpr_workgroup_id_y 0
		.amdhsa_system_sgpr_workgroup_id_z 0
		.amdhsa_system_sgpr_workgroup_info 0
		.amdhsa_system_vgpr_workitem_id 0
		.amdhsa_next_free_vgpr 249
		.amdhsa_next_free_sgpr 37
		.amdhsa_accum_offset 252
		.amdhsa_reserve_vcc 1
		.amdhsa_float_round_mode_32 0
		.amdhsa_float_round_mode_16_64 0
		.amdhsa_float_denorm_mode_32 3
		.amdhsa_float_denorm_mode_16_64 3
		.amdhsa_dx10_clamp 1
		.amdhsa_ieee_mode 1
		.amdhsa_fp16_overflow 0
		.amdhsa_tg_split 0
		.amdhsa_exception_fp_ieee_invalid_op 0
		.amdhsa_exception_fp_denorm_src 0
		.amdhsa_exception_fp_ieee_div_zero 0
		.amdhsa_exception_fp_ieee_overflow 0
		.amdhsa_exception_fp_ieee_underflow 0
		.amdhsa_exception_fp_ieee_inexact 0
		.amdhsa_exception_int_div_zero 0
	.end_amdhsa_kernel
	.text
.Lfunc_end0:
	.size	bluestein_single_back_len374_dim1_half_op_CI_CI, .Lfunc_end0-bluestein_single_back_len374_dim1_half_op_CI_CI
                                        ; -- End function
	.section	.AMDGPU.csdata,"",@progbits
; Kernel info:
; codeLenInByte = 29128
; NumSgprs: 43
; NumVgprs: 249
; NumAgprs: 0
; TotalNumVgprs: 249
; ScratchSize: 0
; MemoryBound: 0
; FloatMode: 240
; IeeeMode: 1
; LDSByteSize: 10472 bytes/workgroup (compile time only)
; SGPRBlocks: 5
; VGPRBlocks: 31
; NumSGPRsForWavesPerEU: 43
; NumVGPRsForWavesPerEU: 249
; AccumOffset: 252
; Occupancy: 2
; WaveLimiterHint : 1
; COMPUTE_PGM_RSRC2:SCRATCH_EN: 0
; COMPUTE_PGM_RSRC2:USER_SGPR: 2
; COMPUTE_PGM_RSRC2:TRAP_HANDLER: 0
; COMPUTE_PGM_RSRC2:TGID_X_EN: 1
; COMPUTE_PGM_RSRC2:TGID_Y_EN: 0
; COMPUTE_PGM_RSRC2:TGID_Z_EN: 0
; COMPUTE_PGM_RSRC2:TIDIG_COMP_CNT: 0
; COMPUTE_PGM_RSRC3_GFX90A:ACCUM_OFFSET: 62
; COMPUTE_PGM_RSRC3_GFX90A:TG_SPLIT: 0
	.text
	.p2alignl 6, 3212836864
	.fill 256, 4, 3212836864
	.type	__hip_cuid_762c0f84ee29aeed,@object ; @__hip_cuid_762c0f84ee29aeed
	.section	.bss,"aw",@nobits
	.globl	__hip_cuid_762c0f84ee29aeed
__hip_cuid_762c0f84ee29aeed:
	.byte	0                               ; 0x0
	.size	__hip_cuid_762c0f84ee29aeed, 1

	.ident	"AMD clang version 19.0.0git (https://github.com/RadeonOpenCompute/llvm-project roc-6.4.0 25133 c7fe45cf4b819c5991fe208aaa96edf142730f1d)"
	.section	".note.GNU-stack","",@progbits
	.addrsig
	.addrsig_sym __hip_cuid_762c0f84ee29aeed
	.amdgpu_metadata
---
amdhsa.kernels:
  - .agpr_count:     0
    .args:
      - .actual_access:  read_only
        .address_space:  global
        .offset:         0
        .size:           8
        .value_kind:     global_buffer
      - .actual_access:  read_only
        .address_space:  global
        .offset:         8
        .size:           8
        .value_kind:     global_buffer
      - .actual_access:  read_only
        .address_space:  global
        .offset:         16
        .size:           8
        .value_kind:     global_buffer
      - .actual_access:  read_only
        .address_space:  global
        .offset:         24
        .size:           8
        .value_kind:     global_buffer
      - .actual_access:  read_only
        .address_space:  global
        .offset:         32
        .size:           8
        .value_kind:     global_buffer
      - .offset:         40
        .size:           8
        .value_kind:     by_value
      - .address_space:  global
        .offset:         48
        .size:           8
        .value_kind:     global_buffer
      - .address_space:  global
        .offset:         56
        .size:           8
        .value_kind:     global_buffer
      - .address_space:  global
        .offset:         64
        .size:           8
        .value_kind:     global_buffer
      - .address_space:  global
        .offset:         72
        .size:           8
        .value_kind:     global_buffer
      - .offset:         80
        .size:           4
        .value_kind:     by_value
      - .address_space:  global
        .offset:         88
        .size:           8
        .value_kind:     global_buffer
      - .address_space:  global
        .offset:         96
        .size:           8
        .value_kind:     global_buffer
    .group_segment_fixed_size: 10472
    .kernarg_segment_align: 8
    .kernarg_segment_size: 104
    .language:       OpenCL C
    .language_version:
      - 2
      - 0
    .max_flat_workgroup_size: 238
    .name:           bluestein_single_back_len374_dim1_half_op_CI_CI
    .private_segment_fixed_size: 0
    .sgpr_count:     43
    .sgpr_spill_count: 0
    .symbol:         bluestein_single_back_len374_dim1_half_op_CI_CI.kd
    .uniform_work_group_size: 1
    .uses_dynamic_stack: false
    .vgpr_count:     249
    .vgpr_spill_count: 0
    .wavefront_size: 64
amdhsa.target:   amdgcn-amd-amdhsa--gfx950
amdhsa.version:
  - 1
  - 2
...

	.end_amdgpu_metadata
